;; amdgpu-corpus repo=ROCm/rocFFT kind=compiled arch=gfx950 opt=O3
	.text
	.amdgcn_target "amdgcn-amd-amdhsa--gfx950"
	.amdhsa_code_object_version 6
	.protected	fft_rtc_back_len884_factors_13_4_17_wgs_204_tpt_68_halfLds_sp_op_CI_CI_unitstride_sbrr_dirReg ; -- Begin function fft_rtc_back_len884_factors_13_4_17_wgs_204_tpt_68_halfLds_sp_op_CI_CI_unitstride_sbrr_dirReg
	.globl	fft_rtc_back_len884_factors_13_4_17_wgs_204_tpt_68_halfLds_sp_op_CI_CI_unitstride_sbrr_dirReg
	.p2align	8
	.type	fft_rtc_back_len884_factors_13_4_17_wgs_204_tpt_68_halfLds_sp_op_CI_CI_unitstride_sbrr_dirReg,@function
fft_rtc_back_len884_factors_13_4_17_wgs_204_tpt_68_halfLds_sp_op_CI_CI_unitstride_sbrr_dirReg: ; @fft_rtc_back_len884_factors_13_4_17_wgs_204_tpt_68_halfLds_sp_op_CI_CI_unitstride_sbrr_dirReg
; %bb.0:
	s_load_dwordx4 s[4:7], s[0:1], 0x58
	s_load_dwordx4 s[8:11], s[0:1], 0x0
	;; [unrolled: 1-line block ×3, first 2 shown]
	v_mul_u32_u24_e32 v1, 0x3c4, v0
	v_lshrrev_b32_e32 v2, 16, v1
	v_mad_u64_u32 v[22:23], s[2:3], s2, 3, v[2:3]
	v_mov_b32_e32 v2, 0
	v_mov_b32_e32 v23, v2
	s_waitcnt lgkmcnt(0)
	v_cmp_lt_u64_e64 s[2:3], s[10:11], 2
	v_mov_b64_e32 v[24:25], 0
	s_and_b64 vcc, exec, s[2:3]
	v_mov_b64_e32 v[16:17], v[24:25]
	v_mov_b64_e32 v[20:21], v[22:23]
	s_cbranch_vccnz .LBB0_8
; %bb.1:
	s_load_dwordx2 s[2:3], s[0:1], 0x10
	s_add_u32 s16, s14, 8
	s_addc_u32 s17, s15, 0
	s_add_u32 s18, s12, 8
	s_addc_u32 s19, s13, 0
	s_waitcnt lgkmcnt(0)
	s_add_u32 s20, s2, 8
	v_mov_b64_e32 v[24:25], 0
	s_addc_u32 s21, s3, 0
	s_mov_b64 s[22:23], 1
	v_mov_b64_e32 v[16:17], v[24:25]
	v_mov_b64_e32 v[4:5], v[22:23]
.LBB0_2:                                ; =>This Inner Loop Header: Depth=1
	s_load_dwordx2 s[24:25], s[20:21], 0x0
                                        ; implicit-def: $vgpr20_vgpr21
	s_waitcnt lgkmcnt(0)
	v_or_b32_e32 v3, s25, v5
	v_cmp_ne_u64_e32 vcc, 0, v[2:3]
	s_and_saveexec_b64 s[2:3], vcc
	s_xor_b64 s[26:27], exec, s[2:3]
	s_cbranch_execz .LBB0_4
; %bb.3:                                ;   in Loop: Header=BB0_2 Depth=1
	v_cvt_f32_u32_e32 v1, s24
	v_cvt_f32_u32_e32 v3, s25
	s_sub_u32 s2, 0, s24
	s_subb_u32 s3, 0, s25
	v_fmac_f32_e32 v1, 0x4f800000, v3
	v_rcp_f32_e32 v1, v1
	s_nop 0
	v_mul_f32_e32 v1, 0x5f7ffffc, v1
	v_mul_f32_e32 v3, 0x2f800000, v1
	v_trunc_f32_e32 v3, v3
	v_fmac_f32_e32 v1, 0xcf800000, v3
	v_cvt_u32_f32_e32 v3, v3
	v_cvt_u32_f32_e32 v1, v1
	v_mul_lo_u32 v6, s2, v3
	v_mul_hi_u32 v8, s2, v1
	v_mul_lo_u32 v7, s3, v1
	v_add_u32_e32 v8, v8, v6
	v_mul_lo_u32 v10, s2, v1
	v_add_u32_e32 v11, v8, v7
	v_mul_hi_u32 v6, v1, v10
	v_mul_hi_u32 v9, v1, v11
	v_mul_lo_u32 v8, v1, v11
	v_mov_b32_e32 v7, v2
	v_lshl_add_u64 v[6:7], v[6:7], 0, v[8:9]
	v_mul_hi_u32 v9, v3, v10
	v_mul_lo_u32 v10, v3, v10
	v_add_co_u32_e32 v6, vcc, v6, v10
	v_mul_hi_u32 v8, v3, v11
	s_nop 0
	v_addc_co_u32_e32 v6, vcc, v7, v9, vcc
	v_mov_b32_e32 v7, v2
	s_nop 0
	v_addc_co_u32_e32 v9, vcc, 0, v8, vcc
	v_mul_lo_u32 v8, v3, v11
	v_lshl_add_u64 v[6:7], v[6:7], 0, v[8:9]
	v_add_co_u32_e32 v1, vcc, v1, v6
	v_mul_lo_u32 v8, s2, v1
	s_nop 0
	v_addc_co_u32_e32 v3, vcc, v3, v7, vcc
	v_mul_lo_u32 v6, s2, v3
	v_mul_hi_u32 v7, s2, v1
	v_add_u32_e32 v6, v7, v6
	v_mul_lo_u32 v7, s3, v1
	v_add_u32_e32 v10, v6, v7
	v_mul_hi_u32 v12, v3, v8
	v_mul_lo_u32 v13, v3, v8
	v_mul_hi_u32 v7, v1, v10
	v_mul_lo_u32 v6, v1, v10
	v_mul_hi_u32 v8, v1, v8
	v_mov_b32_e32 v9, v2
	v_lshl_add_u64 v[6:7], v[8:9], 0, v[6:7]
	v_add_co_u32_e32 v6, vcc, v6, v13
	v_mul_hi_u32 v11, v3, v10
	s_nop 0
	v_addc_co_u32_e32 v6, vcc, v7, v12, vcc
	v_mul_lo_u32 v8, v3, v10
	s_nop 0
	v_addc_co_u32_e32 v9, vcc, 0, v11, vcc
	v_mov_b32_e32 v7, v2
	v_lshl_add_u64 v[6:7], v[6:7], 0, v[8:9]
	v_add_co_u32_e32 v1, vcc, v1, v6
	v_mul_hi_u32 v8, v4, v1
	s_nop 0
	v_addc_co_u32_e32 v3, vcc, v3, v7, vcc
	v_mad_u64_u32 v[6:7], s[2:3], v4, v3, 0
	v_mov_b32_e32 v9, v2
	v_lshl_add_u64 v[6:7], v[8:9], 0, v[6:7]
	v_mad_u64_u32 v[10:11], s[2:3], v5, v1, 0
	v_add_co_u32_e32 v1, vcc, v6, v10
	v_mad_u64_u32 v[8:9], s[2:3], v5, v3, 0
	s_nop 0
	v_addc_co_u32_e32 v6, vcc, v7, v11, vcc
	v_mov_b32_e32 v7, v2
	s_nop 0
	v_addc_co_u32_e32 v9, vcc, 0, v9, vcc
	v_lshl_add_u64 v[6:7], v[6:7], 0, v[8:9]
	v_mul_lo_u32 v1, s25, v6
	v_mul_lo_u32 v3, s24, v7
	v_mad_u64_u32 v[8:9], s[2:3], s24, v6, 0
	v_add3_u32 v1, v9, v3, v1
	v_sub_u32_e32 v3, v5, v1
	v_mov_b32_e32 v9, s25
	v_sub_co_u32_e32 v12, vcc, v4, v8
	v_lshl_add_u64 v[10:11], v[6:7], 0, 1
	s_nop 0
	v_subb_co_u32_e64 v3, s[2:3], v3, v9, vcc
	v_subrev_co_u32_e64 v8, s[2:3], s24, v12
	v_subb_co_u32_e32 v1, vcc, v5, v1, vcc
	s_nop 0
	v_subbrev_co_u32_e64 v3, s[2:3], 0, v3, s[2:3]
	v_cmp_le_u32_e64 s[2:3], s25, v3
	v_cmp_le_u32_e32 vcc, s25, v1
	s_nop 0
	v_cndmask_b32_e64 v9, 0, -1, s[2:3]
	v_cmp_le_u32_e64 s[2:3], s24, v8
	s_nop 1
	v_cndmask_b32_e64 v8, 0, -1, s[2:3]
	v_cmp_eq_u32_e64 s[2:3], s25, v3
	s_nop 1
	v_cndmask_b32_e64 v3, v9, v8, s[2:3]
	v_lshl_add_u64 v[8:9], v[6:7], 0, 2
	v_cmp_ne_u32_e64 s[2:3], 0, v3
	s_nop 1
	v_cndmask_b32_e64 v3, v11, v9, s[2:3]
	v_cndmask_b32_e64 v9, 0, -1, vcc
	v_cmp_le_u32_e32 vcc, s24, v12
	s_nop 1
	v_cndmask_b32_e64 v11, 0, -1, vcc
	v_cmp_eq_u32_e32 vcc, s25, v1
	s_nop 1
	v_cndmask_b32_e32 v1, v9, v11, vcc
	v_cmp_ne_u32_e32 vcc, 0, v1
	v_cndmask_b32_e64 v1, v10, v8, s[2:3]
	s_nop 0
	v_cndmask_b32_e32 v21, v7, v3, vcc
	v_cndmask_b32_e32 v20, v6, v1, vcc
.LBB0_4:                                ;   in Loop: Header=BB0_2 Depth=1
	s_andn2_saveexec_b64 s[2:3], s[26:27]
	s_cbranch_execz .LBB0_6
; %bb.5:                                ;   in Loop: Header=BB0_2 Depth=1
	v_cvt_f32_u32_e32 v1, s24
	s_sub_i32 s26, 0, s24
	v_mov_b32_e32 v21, v2
	v_rcp_iflag_f32_e32 v1, v1
	s_nop 0
	v_mul_f32_e32 v1, 0x4f7ffffe, v1
	v_cvt_u32_f32_e32 v1, v1
	v_mul_lo_u32 v3, s26, v1
	v_mul_hi_u32 v3, v1, v3
	v_add_u32_e32 v1, v1, v3
	v_mul_hi_u32 v1, v4, v1
	v_mul_lo_u32 v3, v1, s24
	v_sub_u32_e32 v3, v4, v3
	v_add_u32_e32 v6, 1, v1
	v_subrev_u32_e32 v7, s24, v3
	v_cmp_le_u32_e32 vcc, s24, v3
	s_nop 1
	v_cndmask_b32_e32 v3, v3, v7, vcc
	v_cndmask_b32_e32 v1, v1, v6, vcc
	v_add_u32_e32 v6, 1, v1
	v_cmp_le_u32_e32 vcc, s24, v3
	s_nop 1
	v_cndmask_b32_e32 v20, v1, v6, vcc
.LBB0_6:                                ;   in Loop: Header=BB0_2 Depth=1
	s_or_b64 exec, exec, s[2:3]
	v_mad_u64_u32 v[6:7], s[2:3], v20, s24, 0
	s_load_dwordx2 s[2:3], s[18:19], 0x0
	v_mul_lo_u32 v1, v21, s24
	v_mul_lo_u32 v3, v20, s25
	s_load_dwordx2 s[24:25], s[16:17], 0x0
	s_add_u32 s22, s22, 1
	v_add3_u32 v1, v7, v3, v1
	v_sub_co_u32_e32 v3, vcc, v4, v6
	s_addc_u32 s23, s23, 0
	s_nop 0
	v_subb_co_u32_e32 v1, vcc, v5, v1, vcc
	s_add_u32 s16, s16, 8
	s_waitcnt lgkmcnt(0)
	v_mul_lo_u32 v4, s2, v1
	v_mul_lo_u32 v5, s3, v3
	v_mad_u64_u32 v[24:25], s[2:3], s2, v3, v[24:25]
	s_addc_u32 s17, s17, 0
	v_add3_u32 v25, v5, v25, v4
	v_mul_lo_u32 v1, s24, v1
	v_mul_lo_u32 v4, s25, v3
	v_mad_u64_u32 v[16:17], s[2:3], s24, v3, v[16:17]
	s_add_u32 s18, s18, 8
	v_add3_u32 v17, v4, v17, v1
	s_addc_u32 s19, s19, 0
	v_mov_b64_e32 v[4:5], s[10:11]
	s_add_u32 s20, s20, 8
	v_cmp_ge_u64_e32 vcc, s[22:23], v[4:5]
	s_addc_u32 s21, s21, 0
	s_cbranch_vccnz .LBB0_8
; %bb.7:                                ;   in Loop: Header=BB0_2 Depth=1
	v_mov_b64_e32 v[4:5], v[20:21]
	s_branch .LBB0_2
.LBB0_8:
	s_load_dwordx2 s[0:1], s[0:1], 0x28
	s_lshl_b64 s[16:17], s[10:11], 3
	s_add_u32 s2, s14, s16
	s_addc_u32 s3, s15, s17
                                        ; implicit-def: $sgpr14_sgpr15
                                        ; implicit-def: $vgpr18
	s_waitcnt lgkmcnt(0)
	v_cmp_gt_u64_e32 vcc, s[0:1], v[20:21]
	v_cmp_le_u64_e64 s[0:1], s[0:1], v[20:21]
	s_and_saveexec_b64 s[10:11], s[0:1]
	s_xor_b64 s[0:1], exec, s[10:11]
; %bb.9:
	s_mov_b32 s10, 0x3c3c3c4
	v_mul_hi_u32 v1, v0, s10
	v_mul_u32_u24_e32 v1, 0x44, v1
	v_sub_u32_e32 v18, v0, v1
	s_mov_b64 s[14:15], 0
                                        ; implicit-def: $vgpr0
                                        ; implicit-def: $vgpr24_vgpr25
; %bb.10:
	s_or_saveexec_b64 s[10:11], s[0:1]
	v_mov_b64_e32 v[2:3], s[14:15]
                                        ; implicit-def: $vgpr32
                                        ; implicit-def: $vgpr34
                                        ; implicit-def: $vgpr36
                                        ; implicit-def: $vgpr38
                                        ; implicit-def: $vgpr30
                                        ; implicit-def: $vgpr28
                                        ; implicit-def: $vgpr6
                                        ; implicit-def: $vgpr14
                                        ; implicit-def: $vgpr12
                                        ; implicit-def: $vgpr8
                                        ; implicit-def: $vgpr4
                                        ; implicit-def: $vgpr10
	s_xor_b64 exec, exec, s[10:11]
	s_cbranch_execz .LBB0_12
; %bb.11:
	s_add_u32 s0, s12, s16
	s_addc_u32 s1, s13, s17
	s_load_dwordx2 s[0:1], s[0:1], 0x0
	s_mov_b32 s12, 0x3c3c3c4
	s_waitcnt lgkmcnt(0)
	v_mul_lo_u32 v1, s1, v20
	v_mul_lo_u32 v4, s0, v21
	v_mad_u64_u32 v[2:3], s[0:1], s0, v20, 0
	v_add3_u32 v3, v3, v4, v1
	v_mul_hi_u32 v1, v0, s12
	v_mul_u32_u24_e32 v1, 0x44, v1
	v_sub_u32_e32 v18, v0, v1
	v_lshl_add_u64 v[0:1], v[2:3], 3, s[4:5]
	v_lshl_add_u64 v[0:1], v[24:25], 3, v[0:1]
	v_lshlrev_b32_e32 v2, 3, v18
	v_mov_b32_e32 v3, 0
	v_lshl_add_u64 v[0:1], v[0:1], 0, v[2:3]
	s_movk_i32 s0, 0x1000
	global_load_dwordx2 v[2:3], v[0:1], off
	global_load_dwordx2 v[24:25], v[0:1], off offset:544
	global_load_dwordx2 v[36:37], v[0:1], off offset:1088
	;; [unrolled: 1-line block ×7, first 2 shown]
	v_add_co_u32_e64 v0, s[0:1], s0, v0
	s_waitcnt vmcnt(6)
	v_mov_b32_e32 v33, v25
	v_addc_co_u32_e64 v1, s[0:1], 0, v1, s[0:1]
	global_load_dwordx2 v[14:15], v[0:1], off offset:256
	global_load_dwordx2 v[12:13], v[0:1], off offset:800
	;; [unrolled: 1-line block ×5, first 2 shown]
	s_waitcnt vmcnt(8)
	v_mov_b32_e32 v32, v35
	v_mov_b32_e32 v35, v24
.LBB0_12:
	s_or_b64 exec, exec, s[10:11]
	s_mov_b32 s0, 0xaaaaaaab
	v_mul_hi_u32 v0, v22, s0
	v_lshrrev_b32_e32 v0, 1, v0
	v_lshl_add_u32 v0, v0, 1, v0
	v_sub_u32_e32 v76, v22, v0
	v_add_f32_e32 v0, v35, v2
	v_add_f32_e32 v0, v36, v0
	s_mov_b32 s4, 0x3df6dbef
	v_add_f32_e32 v26, v38, v0
	s_waitcnt vmcnt(1)
	v_pk_add_f32 v[40:41], v[36:37], v[10:11] neg_lo:[0,1] neg_hi:[0,1]
	v_pk_add_f32 v[0:1], v[36:37], v[10:11]
	s_mov_b32 s5, 0x3f116cb1
	s_mov_b32 s14, 0xbf6f5d39
	v_mov_b32_e32 v42, v41
	v_mov_b32_e32 v43, v0
	s_mov_b32 s16, 0xbf52af12
	s_mov_b32 s17, s5
	;; [unrolled: 1-line block ×3, first 2 shown]
	s_waitcnt vmcnt(0)
	v_pk_add_f32 v[24:25], v[32:33], v[4:5] neg_lo:[0,1] neg_hi:[0,1]
	s_mov_b32 s15, 0xbe750f2a
	v_pk_mul_f32 v[22:23], v[42:43], s[16:17]
	s_mov_b32 s12, 0xbf3f9e67
	s_mov_b32 s18, 0x3f29c268
	;; [unrolled: 1-line block ×4, first 2 shown]
	v_mov_b32_e32 v27, v4
	s_mov_b32 s34, s14
	s_mov_b32 s35, s21
	v_mov_b32_e32 v19, v22
	s_mov_b32 s13, 0x3f62ad3f
	s_mov_b32 s19, 0x3eedf032
	;; [unrolled: 1-line block ×3, first 2 shown]
	v_pk_add_f32 v[26:27], v[34:35], v[26:27]
	v_pk_mul_f32 v[56:57], v[24:25], s[34:35] op_sel:[1,0]
	s_mov_b32 s36, s18
	s_mov_b32 s37, s24
	;; [unrolled: 1-line block ×4, first 2 shown]
	v_pk_fma_f32 v[42:43], v[42:43], s[16:17], v[18:19]
	v_pk_add_f32 v[46:47], v[38:39], v[8:9] neg_lo:[0,1] neg_hi:[0,1]
	s_mov_b32 s17, 0xbf7e222b
	v_mov_b32_e32 v48, v34
	v_mov_b32_e32 v49, v32
	s_mov_b32 s26, s12
	s_mov_b32 s27, s4
	v_pk_mul_f32 v[60:61], v[40:41], s[36:37] op_sel:[1,0]
	s_mov_b32 s38, s19
	s_mov_b32 s39, s16
	v_pk_fma_f32 v[54:55], v[26:27], s[42:43], v[56:57] op_sel:[1,0,0] neg_lo:[0,0,1] neg_hi:[0,0,1]
	v_pk_add_f32 v[44:45], v[38:39], v[8:9]
	v_pk_add_f32 v[50:51], v[48:49], v[12:13] neg_lo:[0,1] neg_hi:[0,1]
	s_mov_b32 s28, s13
	s_mov_b32 s29, s5
	v_pk_mul_f32 v[62:63], v[46:47], s[38:39] op_sel:[1,0]
	s_mov_b32 s41, 0x3e750f2a
	s_mov_b32 s40, s17
	v_pk_fma_f32 v[52:53], v[0:1], s[26:27], v[60:61] op_sel_hi:[0,1,1] neg_lo:[0,0,1] neg_hi:[0,0,1]
	v_pk_add_f32 v[54:55], v[54:55], v[2:3] op_sel_hi:[1,0]
	v_pk_add_f32 v[48:49], v[48:49], v[12:13]
	s_mov_b32 s30, s4
	s_mov_b32 s31, s23
	v_pk_add_f32 v[52:53], v[52:53], v[54:55]
	v_pk_fma_f32 v[54:55], v[44:45], s[28:29], v[62:63] op_sel_hi:[0,1,1] neg_lo:[0,0,1] neg_hi:[0,0,1]
	v_pk_mul_f32 v[64:65], v[50:51], s[40:41] op_sel:[1,0]
	v_pk_add_f32 v[52:53], v[54:55], v[52:53]
	v_pk_fma_f32 v[54:55], v[48:49], s[30:31], v[64:65] op_sel_hi:[0,1,1] neg_lo:[0,0,1] neg_hi:[0,0,1]
	s_mov_b32 s48, s41
	s_mov_b32 s49, s19
	v_pk_add_f32 v[66:67], v[30:31], v[14:15] neg_lo:[0,1] neg_hi:[0,1]
	v_pk_add_f32 v[54:55], v[54:55], v[52:53]
	s_mov_b32 s44, s23
	s_mov_b32 s45, s13
	v_pk_add_f32 v[52:53], v[30:31], v[14:15]
	v_pk_mul_f32 v[72:73], v[66:67], s[48:49] op_sel:[1,0]
	s_mov_b32 s50, 0x3f52af12
	v_pk_fma_f32 v[58:59], v[52:53], s[44:45], v[72:73] op_sel_hi:[0,1,1] neg_lo:[0,0,1] neg_hi:[0,0,1]
	v_pk_add_f32 v[68:69], v[58:59], v[54:55]
	s_mov_b32 s51, s14
	v_pk_add_f32 v[54:55], v[28:29], v[6:7] neg_lo:[0,1] neg_hi:[0,1]
	s_mov_b32 s46, s5
	s_mov_b32 s47, s22
	v_pk_add_f32 v[58:59], v[28:29], v[6:7]
	v_pk_mul_f32 v[74:75], v[54:55], s[50:51] op_sel:[1,0]
	s_mov_b32 s0, s17
	v_pk_fma_f32 v[70:71], v[58:59], s[46:47], v[74:75] op_sel_hi:[0,1,1] neg_lo:[0,0,1] neg_hi:[0,0,1]
	v_pk_add_f32 v[68:69], v[70:71], v[68:69]
	v_mul_u32_u24_e32 v71, 0x374, v76
	v_lshl_add_u32 v38, v71, 2, 0
	v_mad_u32_u24 v36, v18, 52, v38
	ds_write2_b32 v36, v69, v68 offset0:8 offset1:9
	v_mov_b32_e32 v68, v47
	v_mov_b32_e32 v69, v44
	s_mov_b32 s1, s4
	v_pk_mul_f32 v[76:77], v[68:69], s[0:1]
	v_pk_fma_f32 v[56:57], v[26:27], s[42:43], v[56:57] op_sel:[1,0,0]
	v_mov_b32_e32 v19, v76
	v_pk_fma_f32 v[78:79], v[68:69], s[0:1], v[18:19]
	v_mov_b32_e32 v68, v51
	v_mov_b32_e32 v69, v48
	s_mov_b32 s0, s14
	s_mov_b32 s1, s22
	v_pk_mul_f32 v[80:81], v[68:69], s[0:1]
	v_pk_fma_f32 v[60:61], v[0:1], s[26:27], v[60:61] op_sel_hi:[0,1,1]
	v_mov_b32_e32 v19, v80
	v_pk_fma_f32 v[82:83], v[68:69], s[0:1], v[18:19]
	v_mov_b32_e32 v68, v67
	v_mov_b32_e32 v69, v52
	s_mov_b32 s0, s21
	s_mov_b32 s1, s12
	v_pk_mul_f32 v[84:85], v[68:69], s[0:1]
	v_pk_add_f32 v[56:57], v[56:57], v[2:3] op_sel_hi:[1,0]
	v_mov_b32_e32 v19, v84
	v_pk_fma_f32 v[86:87], v[68:69], s[0:1], v[18:19]
	v_mov_b32_e32 v68, v55
	v_mov_b32_e32 v69, v58
	s_mov_b32 s0, s15
	s_mov_b32 s1, s23
	v_pk_mul_f32 v[88:89], v[68:69], s[0:1]
	v_pk_add_f32 v[56:57], v[60:61], v[56:57]
	v_mov_b32_e32 v19, v88
	v_pk_fma_f32 v[90:91], v[68:69], s[0:1], v[18:19]
	v_mov_b32_e32 v69, 0x3f62ad3f
	v_mov_b32_e32 v68, v30
	v_pk_fma_f32 v[60:61], v[44:45], s[28:29], v[62:63] op_sel_hi:[0,1,1]
	v_pk_add_f32 v[92:93], v[30:31], v[26:27]
	v_pk_mul_f32 v[94:95], v[68:69], v[26:27]
	v_pk_add_f32 v[56:57], v[60:61], v[56:57]
	v_pk_fma_f32 v[60:61], v[48:49], s[30:31], v[64:65] op_sel_hi:[0,1,1]
	v_mov_b32_e32 v93, v95
	v_mul_f32_e32 v97, 0xbeedf032, v25
	v_mov_b32_e32 v96, v28
	v_pk_add_f32 v[56:57], v[60:61], v[56:57]
	v_pk_fma_f32 v[60:61], v[52:53], s[44:45], v[72:73] op_sel_hi:[0,1,1]
	v_pk_add_f32 v[92:93], v[96:97], v[92:93]
	v_mov_b32_e32 v96, v6
	v_mov_b32_e32 v97, v2
	v_pk_add_f32 v[56:57], v[60:61], v[56:57]
	v_pk_fma_f32 v[60:61], v[58:59], s[46:47], v[74:75] op_sel_hi:[0,1,1]
	v_pk_add_f32 v[92:93], v[96:97], v[92:93]
	v_mov_b32_e32 v42, v14
	v_mov_b32_e32 v82, v8
	v_pk_add_f32 v[56:57], v[60:61], v[56:57]
	v_mul_f32_e32 v6, 0x3f62ad3f, v0
	v_mul_f32_e32 v8, 0x3eedf032, v41
	v_pk_add_f32 v[42:43], v[42:43], v[92:93]
	v_mov_b32_e32 v78, v12
	ds_write2_b32 v36, v56, v57 offset0:4 offset1:5
	v_pk_add_f32 v[56:57], v[6:7], v[8:9]
	v_pk_add_f32 v[60:61], v[6:7], v[8:9] neg_lo:[0,1] neg_hi:[0,1]
	v_mul_f32_e32 v6, 0xbf3f9e67, v44
	v_mul_f32_e32 v8, 0xbf29c268, v47
	v_pk_add_f32 v[42:43], v[78:79], v[42:43]
	v_mov_b32_e32 v57, v60
	v_pk_add_f32 v[60:61], v[6:7], v[8:9]
	v_pk_add_f32 v[62:63], v[6:7], v[8:9] neg_lo:[0,1] neg_hi:[0,1]
	v_mul_f32_e32 v6, 0x3f116cb1, v48
	v_mul_f32_e32 v8, 0x3f52af12, v51
	v_pk_add_f32 v[42:43], v[82:83], v[42:43]
	v_mov_b32_e32 v86, v10
	v_mov_b32_e32 v61, v62
	v_pk_add_f32 v[62:63], v[6:7], v[8:9]
	v_pk_add_f32 v[64:65], v[6:7], v[8:9] neg_lo:[0,1] neg_hi:[0,1]
	v_mul_f32_e32 v6, 0xbeb58ec6, v52
	v_mul_f32_e32 v8, 0xbf6f5d39, v67
	v_pk_add_f32 v[42:43], v[86:87], v[42:43]
	v_mov_b32_e32 v90, v4
	;; [unrolled: 7-line block ×3, first 2 shown]
	v_pk_add_f32 v[72:73], v[6:7], v[8:9]
	v_pk_add_f32 v[74:75], v[6:7], v[8:9] neg_lo:[0,1] neg_hi:[0,1]
	v_mul_f32_e32 v6, 0xbe750f2a, v25
	v_mul_f32_e32 v8, 0xbf788fa5, v27
	ds_write2_b32 v36, v42, v43 offset1:1
	v_pk_mul_f32 v[42:43], v[24:25], s[16:17] op_sel:[1,0]
	v_mov_b32_e32 v73, v74
	v_fmac_f32_e32 v95, 0x3eedf032, v25
	v_pk_add_f32 v[24:25], v[8:9], v[6:7]
	v_pk_add_f32 v[74:75], v[8:9], v[6:7] neg_lo:[0,1] neg_hi:[0,1]
	s_mov_b32 s52, s5
	v_mov_b32_e32 v25, v74
	v_pk_add_f32 v[24:25], v[24:25], v[2:3] op_sel_hi:[1,0]
	s_mov_b32 s53, s4
	v_pk_add_f32 v[24:25], v[56:57], v[24:25]
	v_pk_fma_f32 v[78:79], v[26:27], s[52:53], v[42:43] op_sel:[1,0,0]
	v_pk_mul_f32 v[82:83], v[40:41], s[14:15] op_sel:[1,0]
	v_pk_add_f32 v[24:25], v[60:61], v[24:25]
	v_pk_add_f32 v[78:79], v[78:79], v[2:3] op_sel_hi:[1,0]
	v_pk_fma_f32 v[86:87], v[0:1], s[22:23], v[82:83] op_sel_hi:[0,1,1]
	s_mov_b32 s59, 0x3f6f5d39
	s_mov_b32 s58, s15
	v_pk_add_f32 v[24:25], v[62:63], v[24:25]
	v_pk_add_f32 v[78:79], v[86:87], v[78:79]
	s_mov_b32 s54, s23
	s_mov_b32 s55, s22
	v_pk_mul_f32 v[86:87], v[46:47], s[58:59] op_sel:[1,0]
	v_pk_add_f32 v[24:25], v[64:65], v[24:25]
	v_pk_fma_f32 v[90:91], v[44:45], s[54:55], v[86:87] op_sel_hi:[0,1,1]
	v_pk_add_f32 v[24:25], v[72:73], v[24:25]
	v_pk_add_f32 v[78:79], v[90:91], v[78:79]
	v_pk_mul_f32 v[90:91], v[50:51], s[18:19] op_sel:[1,0]
	ds_write2_b32 v36, v24, v25 offset0:6 offset1:7
	v_pk_fma_f32 v[24:25], v[26:27], s[52:53], v[42:43] op_sel:[1,0,0] neg_lo:[0,0,1] neg_hi:[0,0,1]
	v_pk_fma_f32 v[92:93], v[48:49], s[12:13], v[90:91] op_sel_hi:[0,1,1]
	s_mov_b32 s25, s16
	v_pk_fma_f32 v[26:27], v[0:1], s[22:23], v[82:83] op_sel_hi:[0,1,1] neg_lo:[0,0,1] neg_hi:[0,0,1]
	v_pk_add_f32 v[24:25], v[24:25], v[2:3] op_sel_hi:[1,0]
	v_pk_add_f32 v[78:79], v[92:93], v[78:79]
	v_pk_mul_f32 v[92:93], v[66:67], s[24:25] op_sel:[1,0]
	v_pk_add_f32 v[24:25], v[26:27], v[24:25]
	v_pk_fma_f32 v[26:27], v[44:45], s[54:55], v[86:87] op_sel_hi:[0,1,1] neg_lo:[0,0,1] neg_hi:[0,0,1]
	v_sub_f32_e32 v6, v23, v22
	v_add_f32_e32 v19, v95, v2
	v_pk_fma_f32 v[96:97], v[52:53], s[4:5], v[92:93] op_sel_hi:[0,1,1]
	s_mov_b32 s20, s19
	v_pk_add_f32 v[24:25], v[26:27], v[24:25]
	v_pk_fma_f32 v[26:27], v[48:49], s[12:13], v[90:91] op_sel_hi:[0,1,1] neg_lo:[0,0,1] neg_hi:[0,0,1]
	v_sub_f32_e32 v8, v77, v76
	v_add_f32_e32 v6, v6, v19
	v_pk_add_f32 v[78:79], v[96:97], v[78:79]
	s_mov_b32 s56, s13
	s_mov_b32 s57, s12
	v_pk_mul_f32 v[96:97], v[54:55], s[20:21] op_sel:[1,0]
	v_pk_add_f32 v[24:25], v[26:27], v[24:25]
	v_pk_fma_f32 v[26:27], v[52:53], s[4:5], v[92:93] op_sel_hi:[0,1,1] neg_lo:[0,0,1] neg_hi:[0,0,1]
	v_sub_f32_e32 v10, v81, v80
	v_add_f32_e32 v6, v8, v6
	v_pk_fma_f32 v[98:99], v[58:59], s[56:57], v[96:97] op_sel_hi:[0,1,1]
	v_pk_add_f32 v[24:25], v[26:27], v[24:25]
	v_sub_f32_e32 v12, v85, v84
	v_add_f32_e32 v6, v10, v6
	v_pk_fma_f32 v[22:23], v[58:59], s[56:57], v[96:97] op_sel_hi:[0,1,1] neg_lo:[0,0,1] neg_hi:[0,0,1]
	s_movk_i32 s0, 0xffd0
	v_pk_add_f32 v[78:79], v[98:99], v[78:79]
	v_sub_f32_e32 v14, v89, v88
	v_add_f32_e32 v6, v12, v6
	v_pk_add_f32 v[22:23], v[22:23], v[24:25]
	v_mad_i32_i24 v19, v18, s0, v36
	ds_write2_b32 v36, v78, v79 offset0:2 offset1:3
	s_load_dwordx2 s[10:11], s[2:3], 0x0
	v_add_f32_e32 v56, v14, v6
	ds_write2_b32 v36, v23, v22 offset0:10 offset1:11
	ds_write_b32 v36, v56 offset:48
	s_waitcnt lgkmcnt(0)
	s_barrier
	v_lshl_add_u32 v70, v18, 2, v38
	v_add_u32_e32 v6, 0x200, v19
	v_add_u32_e32 v8, 0x400, v19
	;; [unrolled: 1-line block ×4, first 2 shown]
	ds_read_b32 v34, v19 offset:3196
	ds_read_b32 v28, v70
	ds_read2_b32 v[62:63], v6 offset0:93 offset1:161
	ds_read2_b32 v[24:25], v8 offset0:101 offset1:186
	;; [unrolled: 1-line block ×5, first 2 shown]
	v_cmp_lt_u32_e64 s[0:1], 16, v18
	v_cmp_gt_u32_e64 s[2:3], 17, v18
                                        ; implicit-def: $vgpr26
	s_and_saveexec_b64 s[60:61], s[2:3]
	s_cbranch_execz .LBB0_14
; %bb.13:
	v_add_u32_e32 v14, 0x300, v19
	ds_read2_b32 v[56:57], v14 offset0:12 offset1:233
	v_add_u32_e32 v14, 0xa00, v19
	ds_read2_b32 v[26:27], v14 offset0:6 offset1:227
.LBB0_14:
	s_or_b64 exec, exec, s[60:61]
	v_add_f32_e32 v14, v33, v3
	v_mov_b32_e32 v74, v1
	v_mov_b32_e32 v75, v40
	s_mov_b32 s60, s5
	s_mov_b32 s61, s16
	v_add_f32_e32 v14, v37, v14
	v_pk_mul_f32 v[76:77], v[74:75], s[60:61]
	v_add_f32_e32 v38, v39, v14
	v_mov_b32_e32 v14, v35
	v_mov_b32_e32 v35, v76
	s_waitcnt lgkmcnt(6)
	v_pk_fma_f32 v[74:75], v[74:75], s[60:61], v[34:35] neg_lo:[1,0,0] neg_hi:[1,0,0]
	v_add_f32_e32 v37, v76, v77
	v_mov_b32_e32 v76, v45
	v_mov_b32_e32 v77, v46
	s_mov_b32 s60, s4
	s_mov_b32 s61, s17
	v_pk_mul_f32 v[78:79], v[76:77], s[60:61]
	v_mov_b32_e32 v39, v5
	v_mov_b32_e32 v35, v78
	v_pk_add_f32 v[72:73], v[14:15], v[4:5] neg_lo:[0,1] neg_hi:[0,1]
	v_pk_fma_f32 v[76:77], v[76:77], s[60:61], v[34:35] neg_lo:[1,0,0] neg_hi:[1,0,0]
	v_mov_b32_e32 v82, v49
	v_mov_b32_e32 v83, v50
	s_mov_b32 s60, s22
	s_mov_b32 s61, s14
	v_pk_add_f32 v[32:33], v[32:33], v[38:39]
	v_mov_b32_e32 v68, v31
	v_mul_f32_e32 v43, 0xbeedf032, v72
	v_pk_mul_f32 v[84:85], v[82:83], s[60:61]
	v_pk_add_f32 v[38:39], v[68:69], v[32:33]
	v_mov_b32_e32 v42, v29
	v_mov_b32_e32 v35, v84
	v_pk_mul_f32 v[92:93], v[68:69], v[32:33]
	v_pk_add_f32 v[38:39], v[38:39], v[42:43]
	v_pk_fma_f32 v[42:43], v[68:69], v[32:33], v[42:43] neg_lo:[0,0,1] neg_hi:[0,0,1]
	v_pk_fma_f32 v[82:83], v[82:83], s[60:61], v[34:35] neg_lo:[1,0,0] neg_hi:[1,0,0]
	v_mov_b32_e32 v88, v53
	v_mov_b32_e32 v89, v66
	s_mov_b32 s60, s12
	s_mov_b32 s61, s21
	v_mov_b32_e32 v39, v43
	v_mov_b32_e32 v42, v7
	;; [unrolled: 1-line block ×3, first 2 shown]
	v_fmac_f32_e32 v93, 0xbeedf032, v72
	v_pk_mul_f32 v[90:91], v[88:89], s[60:61]
	v_pk_add_f32 v[38:39], v[42:43], v[38:39]
	v_mov_b32_e32 v74, v15
	v_add_f32_e32 v7, v93, v3
	v_add_f32_e32 v79, v78, v79
	v_mov_b32_e32 v35, v90
	v_pk_add_f32 v[38:39], v[74:75], v[38:39]
	v_mov_b32_e32 v76, v13
	v_add_f32_e32 v7, v37, v7
	v_add_f32_e32 v81, v84, v85
	v_pk_fma_f32 v[88:89], v[88:89], s[60:61], v[34:35] neg_lo:[1,0,0] neg_hi:[1,0,0]
	v_pk_add_f32 v[38:39], v[76:77], v[38:39]
	v_mov_b32_e32 v82, v9
	v_add_f32_e32 v7, v79, v7
	v_mov_b32_e32 v42, v59
	v_mov_b32_e32 v43, v54
	s_mov_b32 s60, s23
	s_mov_b32 s61, s15
	v_pk_add_f32 v[38:39], v[82:83], v[38:39]
	v_add_f32_e32 v7, v81, v7
	v_add_f32_e32 v9, v90, v91
	v_pk_mul_f32 v[82:83], v[42:43], s[60:61]
	v_add_f32_e32 v9, v9, v7
	v_mov_b32_e32 v7, v82
	v_pk_fma_f32 v[42:43], v[42:43], s[60:61], v[6:7] neg_lo:[1,0,0] neg_hi:[1,0,0]
	v_mov_b32_e32 v88, v11
	v_mov_b32_e32 v42, v5
	v_add_f32_e32 v5, v82, v83
	v_pk_mul_f32 v[82:83], v[72:73], s[16:17] op_sel_hi:[0,1]
	v_pk_add_f32 v[38:39], v[88:89], v[38:39]
	v_pk_mul_f32 v[88:89], v[40:41], s[14:15] op_sel_hi:[0,1]
	v_pk_fma_f32 v[100:101], v[32:33], s[52:53], v[82:83] op_sel:[1,0,0] neg_lo:[0,0,1] neg_hi:[0,0,1]
	v_pk_fma_f32 v[90:91], v[0:1], s[22:23], v[88:89] op_sel:[1,0,0] neg_lo:[0,0,1] neg_hi:[0,0,1]
	v_pk_mul_f32 v[92:93], v[46:47], s[58:59] op_sel_hi:[0,1]
	v_pk_add_f32 v[100:101], v[100:101], v[2:3] op_sel:[0,1]
	v_pk_fma_f32 v[82:83], v[32:33], s[52:53], v[82:83] op_sel:[1,0,0]
	v_pk_fma_f32 v[94:95], v[44:45], s[54:55], v[92:93] op_sel:[1,0,0] neg_lo:[0,0,1] neg_hi:[0,0,1]
	v_pk_mul_f32 v[96:97], v[50:51], s[18:19] op_sel_hi:[0,1]
	v_pk_add_f32 v[90:91], v[90:91], v[100:101]
	v_pk_fma_f32 v[88:89], v[0:1], s[22:23], v[88:89] op_sel:[1,0,0]
	v_pk_add_f32 v[82:83], v[82:83], v[2:3] op_sel:[0,1]
	v_pk_fma_f32 v[98:99], v[48:49], s[12:13], v[96:97] op_sel:[1,0,0] neg_lo:[0,0,1] neg_hi:[0,0,1]
	v_pk_add_f32 v[90:91], v[94:95], v[90:91]
	v_pk_mul_f32 v[94:95], v[66:67], s[24:25] op_sel_hi:[0,1]
	v_pk_fma_f32 v[92:93], v[44:45], s[54:55], v[92:93] op_sel:[1,0,0]
	v_pk_add_f32 v[82:83], v[88:89], v[82:83]
	v_pk_add_f32 v[90:91], v[98:99], v[90:91]
	v_pk_fma_f32 v[98:99], v[52:53], s[4:5], v[94:95] op_sel:[1,0,0] neg_lo:[0,0,1] neg_hi:[0,0,1]
	v_pk_fma_f32 v[96:97], v[48:49], s[12:13], v[96:97] op_sel:[1,0,0]
	v_pk_add_f32 v[82:83], v[92:93], v[82:83]
	v_mul_f32_e32 v4, 0xbe750f2a, v72
	v_pk_add_f32 v[90:91], v[98:99], v[90:91]
	v_pk_mul_f32 v[98:99], v[54:55], s[20:21] op_sel_hi:[0,1]
	v_pk_add_f32 v[82:83], v[96:97], v[82:83]
	v_pk_fma_f32 v[88:89], v[52:53], s[4:5], v[94:95] op_sel:[1,0,0]
	v_pk_mul_f32 v[72:73], v[72:73], s[34:35] op_sel_hi:[0,1]
	v_mul_f32_e32 v30, 0x3eedf032, v40
	v_mul_f32_e32 v68, 0xbf788fa5, v33
	v_pk_add_f32 v[82:83], v[88:89], v[82:83]
	v_pk_fma_f32 v[88:89], v[58:59], s[56:57], v[98:99] op_sel:[1,0,0]
	v_pk_mul_f32 v[40:41], v[40:41], s[36:37] op_sel_hi:[0,1]
	v_pk_fma_f32 v[96:97], v[32:33], s[42:43], v[72:73] op_sel:[1,0,0] neg_lo:[0,0,1] neg_hi:[0,0,1]
	v_pk_fma_f32 v[32:33], v[32:33], s[42:43], v[72:73] op_sel:[1,0,0]
	v_mul_f32_e32 v14, 0x3f62ad3f, v1
	v_mul_f32_e32 v80, 0xbf29c268, v46
	v_pk_add_f32 v[82:83], v[88:89], v[82:83]
	v_pk_fma_f32 v[88:89], v[0:1], s[26:27], v[40:41] op_sel:[1,0,0] neg_lo:[0,0,1] neg_hi:[0,0,1]
	v_pk_mul_f32 v[46:47], v[46:47], s[38:39] op_sel_hi:[0,1]
	v_pk_fma_f32 v[0:1], v[0:1], s[26:27], v[40:41] op_sel:[1,0,0]
	v_pk_add_f32 v[32:33], v[32:33], v[2:3] op_sel:[0,1]
	v_mul_f32_e32 v86, 0x3f52af12, v50
	v_pk_mul_f32 v[50:51], v[50:51], s[40:41] op_sel_hi:[0,1]
	v_pk_fma_f32 v[40:41], v[44:45], s[28:29], v[46:47] op_sel:[1,0,0]
	v_pk_add_f32 v[0:1], v[0:1], v[32:33]
	v_mul_f32_e32 v78, 0xbf3f9e67, v45
	v_pk_fma_f32 v[92:93], v[44:45], s[28:29], v[46:47] op_sel:[1,0,0] neg_lo:[0,0,1] neg_hi:[0,0,1]
	v_pk_fma_f32 v[44:45], v[48:49], s[30:31], v[50:51] op_sel:[1,0,0]
	v_pk_add_f32 v[0:1], v[40:41], v[0:1]
	v_mul_f32_e32 v84, 0x3f116cb1, v49
	v_pk_add_f32 v[0:1], v[44:45], v[0:1]
	v_pk_add_f32 v[44:45], v[14:15], v[30:31] neg_lo:[0,1] neg_hi:[0,1]
	v_pk_add_f32 v[14:15], v[14:15], v[30:31]
	v_pk_add_f32 v[30:31], v[78:79], v[80:81]
	v_mov_b32_e32 v45, v14
	v_pk_add_f32 v[14:15], v[78:79], v[80:81] neg_lo:[0,1] neg_hi:[0,1]
	v_pk_add_f32 v[96:97], v[96:97], v[2:3] op_sel:[0,1]
	v_mov_b32_e32 v15, v30
	v_pk_add_f32 v[30:31], v[84:85], v[86:87] neg_lo:[0,1] neg_hi:[0,1]
	v_pk_add_f32 v[46:47], v[84:85], v[86:87]
	v_pk_add_f32 v[38:39], v[42:43], v[38:39]
	v_add_f32_e32 v42, v5, v9
	v_pk_add_f32 v[88:89], v[88:89], v[96:97]
	v_mov_b32_e32 v31, v46
	v_pk_add_f32 v[46:47], v[68:69], v[4:5] neg_lo:[0,1] neg_hi:[0,1]
	v_pk_add_f32 v[4:5], v[68:69], v[4:5]
	v_mul_f32_e32 v76, 0xbf6f5d39, v66
	v_pk_fma_f32 v[94:95], v[48:49], s[30:31], v[50:51] op_sel:[1,0,0] neg_lo:[0,0,1] neg_hi:[0,0,1]
	v_pk_add_f32 v[88:89], v[92:93], v[88:89]
	v_pk_mul_f32 v[66:67], v[66:67], s[48:49] op_sel_hi:[0,1]
	v_mov_b32_e32 v47, v4
	v_pk_add_f32 v[88:89], v[94:95], v[88:89]
	v_pk_fma_f32 v[92:93], v[52:53], s[44:45], v[66:67] op_sel:[1,0,0] neg_lo:[0,0,1] neg_hi:[0,0,1]
	v_pk_add_f32 v[2:3], v[46:47], v[2:3] op_sel:[0,1]
	v_mul_f32_e32 v74, 0xbeb58ec6, v53
	v_pk_add_f32 v[88:89], v[92:93], v[88:89]
	v_pk_mul_f32 v[92:93], v[54:55], s[50:51] op_sel_hi:[0,1]
	v_pk_fma_f32 v[32:33], v[52:53], s[44:45], v[66:67] op_sel:[1,0,0]
	v_pk_add_f32 v[2:3], v[44:45], v[2:3]
	v_pk_add_f32 v[0:1], v[32:33], v[0:1]
	v_pk_fma_f32 v[32:33], v[58:59], s[46:47], v[92:93] op_sel:[1,0,0]
	v_pk_add_f32 v[2:3], v[14:15], v[2:3]
	v_pk_add_f32 v[4:5], v[74:75], v[76:77] neg_lo:[0,1] neg_hi:[0,1]
	v_pk_add_f32 v[14:15], v[74:75], v[76:77]
	v_pk_add_f32 v[0:1], v[32:33], v[0:1]
	v_mul_f32_e32 v32, 0x3df6dbef, v59
	v_mul_f32_e32 v40, 0x3f7e222b, v54
	v_pk_add_f32 v[2:3], v[30:31], v[2:3]
	v_mov_b32_e32 v5, v14
	v_pk_add_f32 v[2:3], v[4:5], v[2:3]
	v_pk_add_f32 v[4:5], v[32:33], v[40:41] neg_lo:[0,1] neg_hi:[0,1]
	v_pk_add_f32 v[14:15], v[32:33], v[40:41]
	v_pk_fma_f32 v[100:101], v[58:59], s[56:57], v[98:99] op_sel:[1,0,0] neg_lo:[0,0,1] neg_hi:[0,0,1]
	v_pk_fma_f32 v[94:95], v[58:59], s[46:47], v[92:93] op_sel:[1,0,0] neg_lo:[0,0,1] neg_hi:[0,0,1]
	v_mov_b32_e32 v5, v14
	v_pk_add_f32 v[90:91], v[100:101], v[90:91]
	v_pk_add_f32 v[88:89], v[94:95], v[88:89]
	;; [unrolled: 1-line block ×3, first 2 shown]
	s_waitcnt lgkmcnt(0)
	s_barrier
	ds_write2_b32 v36, v38, v39 offset1:1
	ds_write2_b32 v36, v90, v91 offset0:2 offset1:3
	ds_write2_b32 v36, v88, v89 offset0:4 offset1:5
	;; [unrolled: 1-line block ×5, first 2 shown]
	ds_write_b32 v36, v42 offset:48
	s_waitcnt lgkmcnt(0)
	s_barrier
	ds_read2_b32 v[30:31], v6 offset0:93 offset1:161
	ds_read2_b32 v[54:55], v8 offset0:101 offset1:186
	;; [unrolled: 1-line block ×5, first 2 shown]
	ds_read_b32 v67, v70
	ds_read_b32 v35, v19 offset:3196
                                        ; implicit-def: $vgpr58
	s_and_saveexec_b64 s[4:5], s[2:3]
	s_cbranch_execz .LBB0_16
; %bb.15:
	v_add_u32_e32 v0, 0x300, v19
	ds_read2_b32 v[42:43], v0 offset0:12 offset1:233
	v_add_u32_e32 v0, 0xa00, v19
	ds_read2_b32 v[58:59], v0 offset0:6 offset1:227
.LBB0_16:
	s_or_b64 exec, exec, s[4:5]
	s_movk_i32 s2, 0x4f
	v_mul_lo_u16_sdwa v0, v18, s2 dst_sel:DWORD dst_unused:UNUSED_PAD src0_sel:BYTE_0 src1_sel:DWORD
	v_lshrrev_b16_e32 v47, 10, v0
	v_mul_lo_u16_e32 v0, 13, v47
	v_sub_u16_e32 v88, v18, v0
	v_mov_b32_e32 v8, 3
	v_mul_u32_u24_sdwa v0, v88, v8 dst_sel:DWORD dst_unused:UNUSED_PAD src0_sel:BYTE_0 src1_sel:DWORD
	v_lshlrev_b32_e32 v4, 3, v0
	global_load_dwordx2 v[36:37], v4, s[8:9] offset:16
	global_load_dwordx4 v[0:3], v4, s[8:9]
	v_add_u16_e32 v4, 0x44, v18
	v_mul_lo_u16_sdwa v5, v4, s2 dst_sel:DWORD dst_unused:UNUSED_PAD src0_sel:BYTE_0 src1_sel:DWORD
	v_lshrrev_b16_e32 v89, 10, v5
	v_mul_lo_u16_e32 v5, 13, v89
	v_sub_u16_e32 v90, v4, v5
	v_mul_u32_u24_sdwa v4, v90, v8 dst_sel:DWORD dst_unused:UNUSED_PAD src0_sel:BYTE_0 src1_sel:DWORD
	v_lshlrev_b32_e32 v9, 3, v4
	global_load_dwordx2 v[38:39], v9, s[8:9] offset:16
	global_load_dwordx4 v[4:7], v9, s[8:9]
	v_add_u16_e32 v9, 0x88, v18
	v_mul_lo_u16_sdwa v10, v9, s2 dst_sel:DWORD dst_unused:UNUSED_PAD src0_sel:BYTE_0 src1_sel:DWORD
	v_lshrrev_b16_e32 v91, 10, v10
	v_mul_lo_u16_e32 v10, 13, v91
	v_sub_u16_e32 v92, v9, v10
	v_mul_u32_u24_sdwa v8, v92, v8 dst_sel:DWORD dst_unused:UNUSED_PAD src0_sel:BYTE_0 src1_sel:DWORD
	v_add_u32_e32 v66, 0xcc, v18
	v_lshlrev_b32_e32 v12, 3, v8
	s_movk_i32 s2, 0x4ec5
	global_load_dwordx2 v[40:41], v12, s[8:9] offset:16
	global_load_dwordx4 v[8:11], v12, s[8:9]
	v_mul_u32_u24_sdwa v12, v66, s2 dst_sel:DWORD dst_unused:UNUSED_PAD src0_sel:WORD_0 src1_sel:DWORD
	v_lshrrev_b32_e32 v12, 18, v12
	v_mul_lo_u16_e32 v12, 13, v12
	v_sub_u16_e32 v46, v66, v12
	v_mul_u32_u24_e32 v12, 3, v46
	v_lshlrev_b32_e32 v29, 3, v12
	global_load_dwordx4 v[12:15], v29, s[8:9]
	global_load_dwordx2 v[44:45], v29, s[8:9] offset:16
	v_add_f32_e32 v48, v28, v28
	v_mov_b32_e32 v72, v60
	v_add_f32_e32 v68, v60, v60
	v_mov_b32_e32 v82, v61
	s_movk_i32 s2, 0xd0
	s_waitcnt lgkmcnt(0)
	s_barrier
	s_waitcnt vmcnt(7)
	v_mul_f32_e32 v29, v32, v36
	s_waitcnt vmcnt(6)
	v_mul_f32_e32 v76, v55, v3
	v_mul_f32_e32 v49, v62, v1
	;; [unrolled: 1-line block ×3, first 2 shown]
	v_fmac_f32_e32 v76, v25, v2
	v_mul_f32_e32 v75, v30, v1
	v_mul_f32_e32 v1, v32, v37
	v_fma_f32 v49, v30, v0, -v49
	v_pk_add_f32 v[28:29], v[28:29], v[76:77] neg_lo:[0,1] neg_hi:[0,1]
	s_waitcnt vmcnt(4)
	v_mul_f32_e32 v37, v31, v5
	v_mul_f32_e32 v5, v63, v5
	;; [unrolled: 1-line block ×6, first 2 shown]
	v_fma_f32 v69, v31, v4, -v5
	v_fmac_f32_e32 v32, v22, v6
	v_pk_add_f32 v[30:31], v[48:49], v[28:29] neg_lo:[0,1] neg_hi:[0,1]
	v_fmac_f32_e32 v1, v64, v36
	v_fmac_f32_e32 v75, v62, v0
	v_add_f32_e32 v74, v49, v49
	v_pk_add_f32 v[32:33], v[72:73], v[32:33] neg_lo:[0,1] neg_hi:[0,1]
	v_mov_b32_e32 v0, v31
	v_fmac_f32_e32 v79, v65, v38
	v_pk_add_f32 v[48:49], v[68:69], v[32:33] neg_lo:[0,1] neg_hi:[0,1]
	v_pk_add_f32 v[64:65], v[74:75], v[0:1] neg_lo:[0,1] neg_hi:[0,1]
	s_waitcnt vmcnt(2)
	v_mul_f32_e32 v39, v54, v9
	v_mul_f32_e32 v60, v24, v9
	;; [unrolled: 1-line block ×4, first 2 shown]
	s_waitcnt vmcnt(1)
	v_mul_f32_e32 v35, v57, v13
	v_fmac_f32_e32 v37, v63, v4
	v_add_f32_e32 v36, v69, v69
	v_mov_b32_e32 v5, v28
	v_mov_b32_e32 v78, v49
	v_fma_f32 v4, v75, 2.0, -v65
	v_mul_f32_e32 v81, v34, v41
	s_waitcnt vmcnt(0)
	v_mul_f32_e32 v87, v59, v45
	v_mul_f32_e32 v85, v27, v45
	v_fmac_f32_e32 v9, v34, v40
	v_fma_f32 v45, v43, v12, -v35
	v_pk_add_f32 v[34:35], v[30:31], v[4:5] neg_lo:[0,1] neg_hi:[0,1]
	v_pk_add_f32 v[4:5], v[30:31], v[4:5]
	v_pk_add_f32 v[62:63], v[36:37], v[78:79] neg_lo:[0,1] neg_hi:[0,1]
	v_mul_f32_e32 v80, v53, v11
	v_fma_f32 v4, v28, 2.0, -v5
	v_fma_f32 v28, v37, 2.0, -v63
	v_mov_b32_e32 v29, v32
	v_mul_f32_e32 v41, v43, v13
	v_fmac_f32_e32 v80, v23, v10
	v_fma_f32 v0, v30, 2.0, -v34
	v_pk_add_f32 v[30:31], v[48:49], v[28:29] neg_lo:[0,1] neg_hi:[0,1]
	v_pk_add_f32 v[28:29], v[48:49], v[28:29]
	v_fma_f32 v13, v54, v8, -v60
	v_fmac_f32_e32 v41, v57, v12
	v_mov_b32_e32 v31, v29
	v_mov_b32_e32 v49, v32
	v_add_f32_e32 v12, v61, v61
	v_pk_add_f32 v[32:33], v[82:83], v[80:81] neg_lo:[0,1] neg_hi:[0,1]
	v_pk_fma_f32 v[36:37], v[48:49], 2.0, v[30:31] op_sel_hi:[1,0,1] neg_lo:[0,0,1] neg_hi:[0,0,1]
	v_pk_add_f32 v[48:49], v[12:13], v[32:33] neg_lo:[0,1] neg_hi:[0,1]
	v_mul_f32_e32 v84, v58, v15
	v_fmac_f32_e32 v39, v24, v8
	v_add_f32_e32 v38, v13, v13
	v_mov_b32_e32 v8, v49
	v_fmac_f32_e32 v84, v26, v14
	v_mul_f32_e32 v57, v59, v44
	v_pk_add_f32 v[60:61], v[38:39], v[8:9] neg_lo:[0,1] neg_hi:[0,1]
	v_fmac_f32_e32 v87, v27, v44
	v_fma_f32 v8, v39, 2.0, -v61
	v_add_f32_e32 v44, v56, v56
	v_pk_add_f32 v[38:39], v[56:57], v[84:85] neg_lo:[0,1] neg_hi:[0,1]
	v_mov_b32_e32 v68, v48
	v_mov_b32_e32 v69, v32
	;; [unrolled: 1-line block ×3, first 2 shown]
	v_add_f32_e32 v40, v45, v45
	v_pk_add_f32 v[44:45], v[44:45], v[38:39] neg_lo:[0,1] neg_hi:[0,1]
	v_pk_add_f32 v[12:13], v[48:49], v[8:9] neg_lo:[0,1] neg_hi:[0,1]
	v_pk_add_f32 v[32:33], v[48:49], v[68:69]
	v_mov_b32_e32 v86, v45
	v_mov_b32_e32 v13, v33
	;; [unrolled: 1-line block ×3, first 2 shown]
	v_pk_add_f32 v[56:57], v[40:41], v[86:87] neg_lo:[0,1] neg_hi:[0,1]
	v_mov_b32_e32 v24, 2
	v_pk_fma_f32 v[8:9], v[68:69], 2.0, v[12:13] op_sel_hi:[1,0,1] neg_lo:[0,0,1] neg_hi:[0,0,1]
	v_fma_f32 v38, v41, 2.0, -v57
	v_mov_b32_e32 v39, v49
	v_mad_u32_u24 v1, v47, s2, 0
	v_lshlrev_b32_sdwa v27, v24, v88 dst_sel:DWORD dst_unused:UNUSED_PAD src0_sel:DWORD src1_sel:BYTE_0
	v_lshlrev_b32_e32 v13, 2, v71
	v_mov_b32_e32 v48, v44
	v_pk_add_f32 v[40:41], v[44:45], v[38:39] neg_lo:[0,1] neg_hi:[0,1]
	v_pk_add_f32 v[44:45], v[44:45], v[38:39]
	v_add3_u32 v31, v1, v27, v13
	v_mad_u32_u24 v1, v89, s2, 0
	v_lshlrev_b32_sdwa v27, v24, v90 dst_sel:DWORD dst_unused:UNUSED_PAD src0_sel:DWORD src1_sel:BYTE_0
	v_mov_b32_e32 v41, v45
	v_add3_u32 v28, v1, v27, v13
	v_mad_u32_u24 v1, v91, s2, 0
	v_lshlrev_b32_sdwa v24, v24, v92 dst_sel:DWORD dst_unused:UNUSED_PAD src0_sel:DWORD src1_sel:BYTE_0
	v_pk_fma_f32 v[38:39], v[48:49], 2.0, v[40:41] op_sel_hi:[1,0,1] neg_lo:[0,0,1] neg_hi:[0,0,1]
	v_add3_u32 v41, v1, v24, v13
	ds_write2_b32 v31, v0, v4 offset1:13
	ds_write2_b32 v31, v34, v5 offset0:26 offset1:39
	ds_write2_b32 v28, v36, v37 offset1:13
	ds_write2_b32 v28, v30, v29 offset0:26 offset1:39
	;; [unrolled: 2-line block ×3, first 2 shown]
	s_and_saveexec_b64 s[2:3], s[0:1]
	s_xor_b64 s[2:3], exec, s[2:3]
	s_or_saveexec_b64 s[2:3], s[2:3]
	v_lshlrev_b32_e32 v32, 2, v46
	s_xor_b64 exec, exec, s[2:3]
	s_cbranch_execz .LBB0_18
; %bb.17:
	s_movk_i32 s4, 0x4f
	v_mul_lo_u16_sdwa v1, v66, s4 dst_sel:DWORD dst_unused:UNUSED_PAD src0_sel:BYTE_0 src1_sel:DWORD
	v_lshrrev_b16_e32 v1, 10, v1
	s_movk_i32 s4, 0xd0
	v_mad_u32_u24 v1, v1, s4, 0
	v_add3_u32 v1, v1, v32, v13
	ds_write2_b32 v1, v38, v39 offset1:13
	ds_write2_b32 v1, v40, v45 offset0:26 offset1:39
.LBB0_18:
	s_or_b64 exec, exec, s[2:3]
	v_cmp_gt_u32_e64 s[2:3], 52, v18
	v_cmp_lt_u32_e64 s[4:5], 51, v18
	s_waitcnt lgkmcnt(0)
	s_barrier
	s_waitcnt lgkmcnt(0)
                                        ; implicit-def: $vgpr48_vgpr49
                                        ; implicit-def: $vgpr46_vgpr47
	s_and_saveexec_b64 s[12:13], s[4:5]
	s_xor_b64 s[12:13], exec, s[12:13]
; %bb.19:
	v_mov_b32_e32 v35, v5
	v_mov_b64_e32 v[48:49], v[34:35]
	v_mov_b64_e32 v[46:47], v[36:37]
; %bb.20:
	s_or_saveexec_b64 s[12:13], s[12:13]
                                        ; implicit-def: $vgpr35
	s_xor_b64 exec, exec, s[12:13]
	s_cbranch_execz .LBB0_22
; %bb.21:
	v_add_u32_e32 v1, 0x400, v19
	ds_read_b32 v0, v70
	ds_read2_b32 v[4:5], v19 offset0:52 offset1:104
	ds_read2_b32 v[68:69], v19 offset0:156 offset1:208
	;; [unrolled: 1-line block ×4, first 2 shown]
	v_add_u32_e32 v1, 0x600, v19
	ds_read2_b32 v[72:73], v1 offset0:84 offset1:136
	v_add_u32_e32 v1, 0x800, v19
	ds_read2_b32 v[74:75], v1 offset0:60 offset1:112
	ds_read2_b32 v[76:77], v1 offset0:164 offset1:216
	v_add_u32_e32 v1, 0xc00, v19
	ds_read2_b32 v[34:35], v1 offset0:12 offset1:64
	s_waitcnt lgkmcnt(6)
	v_mov_b32_e32 v46, v69
	s_waitcnt lgkmcnt(5)
	v_mov_b32_e32 v47, v44
	v_mov_b32_e32 v48, v5
	;; [unrolled: 1-line block ×3, first 2 shown]
	s_waitcnt lgkmcnt(4)
	v_mov_b32_e32 v8, v37
	s_waitcnt lgkmcnt(3)
	v_mov_b32_e32 v9, v72
	;; [unrolled: 2-line block ×4, first 2 shown]
	v_mov_b32_e32 v30, v45
	v_mov_b32_e32 v29, v36
	;; [unrolled: 1-line block ×4, first 2 shown]
	s_waitcnt lgkmcnt(0)
	v_mov_b32_e32 v45, v34
	v_mov_b32_e32 v33, v74
	;; [unrolled: 1-line block ×6, first 2 shown]
.LBB0_22:
	s_or_b64 exec, exec, s[12:13]
	v_mul_f32_e32 v1, v25, v3
	v_fma_f32 v1, v55, v2, -v1
	v_mul_f32_e32 v2, v22, v7
	v_fma_f32 v7, v52, v6, -v2
	v_mul_f32_e32 v2, v23, v11
	v_fma_f32 v10, v53, v10, -v2
	v_mul_f32_e32 v2, v26, v15
	v_sub_f32_e32 v3, v67, v1
	v_fma_f32 v11, v58, v14, -v2
	v_fma_f32 v2, v67, 2.0, -v3
	v_pk_add_f32 v[54:55], v[2:3], v[64:65] neg_lo:[0,1] neg_hi:[0,1]
	v_sub_f32_e32 v11, v42, v11
	v_fma_f32 v6, v3, 2.0, -v55
	v_sub_f32_e32 v3, v50, v7
	v_fma_f32 v1, v2, 2.0, -v54
	v_fma_f32 v2, v50, 2.0, -v3
	v_pk_add_f32 v[22:23], v[2:3], v[62:63] neg_lo:[0,1] neg_hi:[0,1]
	s_nop 0
	v_pk_fma_f32 v[52:53], v[2:3], 2.0, v[22:23] op_sel_hi:[1,0,1] neg_lo:[0,0,1] neg_hi:[0,0,1]
	v_sub_f32_e32 v3, v51, v10
	v_fma_f32 v2, v51, 2.0, -v3
	v_fma_f32 v10, v42, 2.0, -v11
	v_pk_add_f32 v[14:15], v[2:3], v[60:61] neg_lo:[0,1] neg_hi:[0,1]
	v_pk_add_f32 v[26:27], v[10:11], v[56:57] neg_lo:[0,1] neg_hi:[0,1]
	v_pk_fma_f32 v[2:3], v[2:3], 2.0, v[14:15] op_sel_hi:[1,0,1] neg_lo:[0,0,1] neg_hi:[0,0,1]
	v_pk_fma_f32 v[24:25], v[10:11], 2.0, v[26:27] op_sel_hi:[1,0,1] neg_lo:[0,0,1] neg_hi:[0,0,1]
	s_barrier
	ds_write2_b32 v31, v1, v6 offset1:13
	ds_write2_b32 v31, v54, v55 offset0:26 offset1:39
	ds_write2_b32 v28, v52, v53 offset1:13
	ds_write2_b32 v28, v22, v23 offset0:26 offset1:39
	;; [unrolled: 2-line block ×3, first 2 shown]
	s_and_saveexec_b64 s[12:13], s[0:1]
	s_xor_b64 s[0:1], exec, s[12:13]
; %bb.23:
                                        ; implicit-def: $vgpr66
                                        ; implicit-def: $vgpr32
                                        ; implicit-def: $vgpr13
; %bb.24:
	s_andn2_saveexec_b64 s[0:1], s[0:1]
	s_cbranch_execz .LBB0_26
; %bb.25:
	s_movk_i32 s12, 0x4f
	v_mul_lo_u16_sdwa v7, v66, s12 dst_sel:DWORD dst_unused:UNUSED_PAD src0_sel:BYTE_0 src1_sel:DWORD
	v_lshrrev_b16_e32 v7, 10, v7
	s_movk_i32 s12, 0xd0
	v_mad_u32_u24 v7, v7, s12, 0
	v_add3_u32 v7, v7, v32, v13
	ds_write2_b32 v7, v24, v25 offset1:13
	ds_write2_b32 v7, v26, v27 offset0:26 offset1:39
.LBB0_26:
	s_or_b64 exec, exec, s[0:1]
	s_waitcnt lgkmcnt(0)
	s_barrier
	s_waitcnt lgkmcnt(0)
                                        ; implicit-def: $vgpr50_vgpr51
                                        ; implicit-def: $vgpr42_vgpr43
	s_and_saveexec_b64 s[0:1], s[4:5]
	s_xor_b64 s[0:1], exec, s[0:1]
; %bb.27:
	v_mov_b64_e32 v[50:51], v[54:55]
	v_mov_b64_e32 v[42:43], v[52:53]
                                        ; implicit-def: $vgpr70
                                        ; implicit-def: $vgpr19
; %bb.28:
	s_or_saveexec_b64 s[0:1], s[0:1]
                                        ; implicit-def: $vgpr11
	s_xor_b64 exec, exec, s[0:1]
	s_cbranch_execz .LBB0_30
; %bb.29:
	v_add_u32_e32 v2, 0x400, v19
	ds_read_b32 v1, v70
	ds_read2_b32 v[6:7], v19 offset0:52 offset1:104
	ds_read2_b32 v[56:57], v19 offset0:156 offset1:208
	;; [unrolled: 1-line block ×4, first 2 shown]
	v_add_u32_e32 v2, 0x600, v19
	ds_read2_b32 v[14:15], v2 offset0:84 offset1:136
	v_add_u32_e32 v2, 0x800, v19
	ds_read2_b32 v[52:53], v2 offset0:60 offset1:112
	ds_read2_b32 v[26:27], v2 offset0:164 offset1:216
	v_add_u32_e32 v2, 0xc00, v19
	ds_read2_b32 v[10:11], v2 offset0:12 offset1:64
	s_waitcnt lgkmcnt(6)
	v_mov_b32_e32 v42, v57
	s_waitcnt lgkmcnt(5)
	v_mov_b32_e32 v43, v54
	v_mov_b32_e32 v50, v7
	;; [unrolled: 1-line block ×3, first 2 shown]
	s_waitcnt lgkmcnt(4)
	v_mov_b32_e32 v2, v23
	s_waitcnt lgkmcnt(3)
	v_mov_b32_e32 v3, v14
	;; [unrolled: 2-line block ×4, first 2 shown]
	v_mov_b32_e32 v14, v15
	v_mov_b32_e32 v26, v27
	s_waitcnt lgkmcnt(0)
	v_mov_b32_e32 v27, v10
	v_mov_b32_e32 v15, v52
	;; [unrolled: 1-line block ×8, first 2 shown]
.LBB0_30:
	s_or_b64 exec, exec, s[0:1]
	v_cmp_gt_u32_e64 s[0:1], 52, v18
	s_and_b64 s[0:1], vcc, s[0:1]
	s_and_saveexec_b64 s[4:5], s[0:1]
	s_cbranch_execz .LBB0_32
; %bb.31:
	v_lshlrev_b32_e32 v7, 4, v18
	v_add_u32_e32 v10, 0xfffffcc0, v7
	v_cndmask_b32_e64 v56, v10, v7, s[2:3]
	v_mov_b32_e32 v57, 0
	v_lshl_add_u64 v[86:87], v[56:57], 3, s[8:9]
	global_load_dwordx4 v[58:61], v[86:87], off offset:424
	global_load_dwordx4 v[62:65], v[86:87], off offset:312
	;; [unrolled: 1-line block ×7, first 2 shown]
	v_mov_b32_e32 v28, v11
	global_load_dwordx4 v[86:89], v[86:87], off offset:376
	v_mul_lo_u32 v7, s11, v20
	v_mul_lo_u32 v13, s10, v21
	v_mad_u64_u32 v[10:11], s[0:1], s10, v20, 0
	v_add3_u32 v11, v11, v13, v7
	v_mov_b32_e32 v92, v15
	v_mov_b32_e32 v32, v35
	;; [unrolled: 1-line block ×5, first 2 shown]
	v_lshl_add_u64 v[10:11], v[10:11], 3, s[6:7]
	v_mov_b32_e32 v19, v57
	v_lshl_add_u64 v[16:17], v[16:17], 3, v[10:11]
	v_lshl_add_u64 v[10:11], v[18:19], 3, v[16:17]
	s_mov_b32 s10, 0x3f3d2fb0
	s_mov_b32 s8, 0x3ee437d1
	s_mov_b32 s11, 0xbf2c7751
	s_mov_b32 s9, 0xbf65296c
	s_mov_b32 s40, s11
	s_mov_b32 s41, s10
	s_mov_b32 s50, s9
	s_mov_b32 s51, s8
	s_mov_b32 s0, 0x3dbcf732
	s_mov_b32 s1, 0xbf7ee86f
	s_mov_b32 s20, 0xbe8c1d8e
	s_mov_b32 s36, s1
	s_mov_b32 s37, s0
	s_mov_b32 s21, 0xbf763a35
	s_mov_b32 s2, 0xbf1a4643
	s_mov_b32 s24, s21
	s_mov_b32 s25, s20
	s_mov_b32 s3, 0xbf4c4adb
	s_mov_b32 s6, 0xbf59a7d5
	s_mov_b32 s30, s3
	s_mov_b32 s31, s2
	s_mov_b32 s7, 0xbf06c442
	s_mov_b32 s4, 0xbf7ba420
	s_mov_b32 s34, s7
	s_mov_b32 s35, s6
	s_mov_b32 s5, 0xbe3c28d5
	s_mov_b32 s38, s5
	s_mov_b32 s39, s4
	s_mov_b32 s12, s11
	s_mov_b32 s57, s6
	s_mov_b32 s15, 0x3f763a35
	s_mov_b32 s54, s15
	s_mov_b32 s55, s20
	s_mov_b32 s14, s20
	s_mov_b32 s17, 0x3f65296c
	s_mov_b32 s42, s17
	s_mov_b32 s43, s8
	s_mov_b32 s16, s8
	s_mov_b32 s18, 0x3f6eb680
	s_mov_b32 s19, 0x3eb8f4ab
	s_mov_b32 s44, s19
	s_mov_b32 s45, s18
	s_mov_b32 s23, 0xbeb8f4ab
	s_mov_b32 s22, s18
	s_mov_b32 s52, s23
	s_mov_b32 s53, s18
	s_mov_b32 s46, s9
	s_mov_b32 s27, 0x3e3c28d5
	s_mov_b32 s28, s27
	s_mov_b32 s29, s4
	s_mov_b32 s26, s4
	s_mov_b32 s49, s10
	s_mov_b32 s59, s2
	s_waitcnt vmcnt(7)
	v_pk_mul_f32 v[94:95], v[28:29], v[60:61] op_sel_hi:[0,1]
	s_waitcnt vmcnt(6)
	v_mul_f32_e32 v7, v4, v63
	s_waitcnt vmcnt(5)
	v_mul_f32_e32 v98, v55, v67
	v_mul_f32_e32 v20, v6, v63
	v_mov_b32_e32 v55, v66
	v_fmac_f32_e32 v98, v5, v66
	v_mov_b32_e32 v66, v65
	v_mul_f32_e32 v28, v54, v65
	v_mov_b32_e32 v54, v64
	s_waitcnt vmcnt(4)
	v_mul_f32_e32 v13, v30, v73
	s_waitcnt vmcnt(3)
	v_mul_f32_e32 v15, v29, v75
	v_mul_f32_e32 v104, v53, v71
	v_fma_f32 v21, v6, v62, -v7
	v_fmac_f32_e32 v20, v4, v62
	v_pk_mul_f32 v[4:5], v[48:49], v[66:67]
	v_mov_b32_e32 v107, v70
	v_fmac_f32_e32 v28, v34, v64
	v_fma_f32 v101, v22, v72, -v13
	v_fma_f32 v103, v23, v74, -v15
	v_fmac_f32_e32 v104, v37, v70
	v_mov_b32_e32 v70, v69
	v_add_f32_e32 v13, v1, v21
	v_add_f32_e32 v15, v0, v20
	v_pk_fma_f32 v[50:51], v[50:51], v[54:55], v[4:5] neg_lo:[0,0,1] neg_hi:[0,0,1]
	v_mul_f32_e32 v52, v52, v69
	v_mov_b32_e32 v106, v68
	v_pk_mul_f32 v[6:7], v[46:47], v[70:71]
	v_add_f32_e32 v4, v15, v28
	v_add_f32_e32 v5, v13, v50
	v_fmac_f32_e32 v52, v36, v68
	v_pk_fma_f32 v[42:43], v[42:43], v[106:107], v[6:7] neg_lo:[0,0,1] neg_hi:[0,0,1]
	v_add_f32_e32 v4, v4, v98
	v_add_f32_e32 v5, v5, v51
	s_waitcnt vmcnt(0)
	v_pk_mul_f32 v[14:15], v[14:15], v[88:89] op_sel_hi:[0,1]
	v_mul_f32_e32 v100, v22, v73
	v_add_f32_e32 v4, v4, v52
	v_add_f32_e32 v5, v5, v42
	v_pk_fma_f32 v[64:65], v[12:13], v[88:89], v[14:15] op_sel:[0,0,1] op_sel_hi:[0,1,0]
	v_pk_fma_f32 v[66:67], v[12:13], v[88:89], v[14:15] op_sel:[0,0,1] op_sel_hi:[0,1,0] neg_lo:[1,0,0] neg_hi:[1,0,0]
	v_pk_mul_f32 v[14:15], v[2:3], v[86:87] op_sel:[1,0]
	v_mul_f32_e32 v102, v23, v75
	v_fmac_f32_e32 v100, v30, v72
	v_add_f32_e32 v4, v4, v104
	v_add_f32_e32 v5, v5, v43
	v_pk_fma_f32 v[68:69], v[8:9], v[86:87], v[14:15] op_sel:[1,0,1] op_sel_hi:[1,1,0]
	v_pk_fma_f32 v[70:71], v[8:9], v[86:87], v[14:15] op_sel:[1,0,1] op_sel_hi:[1,1,0] neg_lo:[1,0,0] neg_hi:[1,0,0]
	v_mov_b32_e32 v54, v77
	v_mov_b32_e32 v55, v76
	v_pk_mul_f32 v[8:9], v[8:9], v[76:77] op_sel_hi:[0,1]
	v_fmac_f32_e32 v102, v29, v74
	v_pk_fma_f32 v[72:73], v[2:3], v[54:55], v[8:9] op_sel_hi:[0,1,1]
	v_pk_fma_f32 v[74:75], v[2:3], v[54:55], v[8:9] op_sel_hi:[0,1,1] neg_lo:[0,0,1] neg_hi:[0,0,1]
	v_pk_add_f32 v[4:5], v[4:5], v[100:101]
	v_mov_b32_e32 v2, v72
	v_mov_b32_e32 v3, v75
	v_pk_add_f32 v[4:5], v[4:5], v[102:103]
	v_pk_mul_f32 v[108:109], v[24:25], v[78:79] op_sel:[1,0]
	v_pk_mul_f32 v[110:111], v[24:25], v[84:85] op_sel_hi:[0,1]
	v_pk_fma_f32 v[24:25], v[32:33], v[60:61], v[94:95] op_sel:[0,0,1] op_sel_hi:[1,1,0]
	v_pk_mul_f32 v[6:7], v[92:93], v[82:83] op_sel_hi:[0,1]
	v_mov_b32_e32 v32, v33
	v_mov_b32_e32 v14, v68
	;; [unrolled: 1-line block ×3, first 2 shown]
	v_pk_add_f32 v[2:3], v[4:5], v[2:3]
	v_pk_fma_f32 v[62:63], v[32:33], v[82:83], v[6:7] op_sel:[0,0,1] op_sel_hi:[0,1,0]
	v_pk_fma_f32 v[32:33], v[32:33], v[82:83], v[6:7] op_sel:[0,0,1] op_sel_hi:[0,1,0] neg_lo:[1,0,0] neg_hi:[1,0,0]
	v_mov_b32_e32 v12, v64
	v_mov_b32_e32 v13, v67
	v_pk_add_f32 v[2:3], v[2:3], v[14:15]
	v_pk_fma_f32 v[30:31], v[38:39], v[78:79], v[108:109] op_sel:[1,0,1] op_sel_hi:[1,1,0]
	v_pk_fma_f32 v[34:35], v[38:39], v[78:79], v[108:109] op_sel:[1,0,1] op_sel_hi:[1,1,0] neg_lo:[1,0,0] neg_hi:[1,0,0]
	v_pk_fma_f32 v[36:37], v[38:39], v[84:85], v[110:111] op_sel:[0,0,1] op_sel_hi:[0,1,0]
	v_pk_fma_f32 v[38:39], v[38:39], v[84:85], v[110:111] op_sel:[0,0,1] op_sel_hi:[0,1,0] neg_lo:[1,0,0] neg_hi:[1,0,0]
	v_mov_b32_e32 v6, v62
	v_mov_b32_e32 v7, v33
	v_pk_add_f32 v[2:3], v[12:13], v[2:3]
	v_pk_mul_f32 v[96:97], v[56:57], v[58:59] op_sel_hi:[0,1]
	v_pk_mul_f32 v[26:27], v[26:27], v[80:81] op_sel_hi:[0,1]
	v_mov_b32_e32 v48, v36
	v_mov_b32_e32 v49, v39
	v_pk_add_f32 v[2:3], v[6:7], v[2:3]
	v_pk_fma_f32 v[44:45], v[44:45], v[60:61], v[94:95] op_sel:[0,0,1] op_sel_hi:[0,1,0] neg_lo:[1,0,0] neg_hi:[1,0,0]
	v_pk_fma_f32 v[60:61], v[90:91], v[58:59], v[96:97] op_sel:[0,0,1] op_sel_hi:[0,1,0]
	v_pk_fma_f32 v[22:23], v[40:41], v[80:81], v[26:27] op_sel:[0,0,1] op_sel_hi:[0,1,0]
	v_pk_fma_f32 v[26:27], v[40:41], v[80:81], v[26:27] op_sel:[0,0,1] op_sel_hi:[0,1,0] neg_lo:[1,0,0] neg_hi:[1,0,0]
	v_mov_b32_e32 v46, v30
	v_mov_b32_e32 v47, v35
	v_pk_add_f32 v[2:3], v[48:49], v[2:3]
	v_pk_fma_f32 v[58:59], v[90:91], v[58:59], v[96:97] op_sel:[0,0,1] op_sel_hi:[0,1,0] neg_lo:[1,0,0] neg_hi:[1,0,0]
	v_mov_b32_e32 v25, v45
	v_mov_b32_e32 v44, v22
	;; [unrolled: 1-line block ×3, first 2 shown]
	v_pk_add_f32 v[2:3], v[46:47], v[2:3]
	v_pk_add_f32 v[4:5], v[28:29], v[60:61]
	v_pk_add_f32 v[6:7], v[28:29], v[60:61] neg_lo:[0,1] neg_hi:[0,1]
	v_mov_b32_e32 v40, v60
	v_mov_b32_e32 v41, v59
	v_pk_add_f32 v[2:3], v[44:45], v[2:3]
	v_mov_b32_e32 v5, v6
	v_pk_add_f32 v[6:7], v[98:99], v[22:23]
	v_pk_add_f32 v[8:9], v[98:99], v[22:23] neg_lo:[0,1] neg_hi:[0,1]
	v_pk_add_f32 v[2:3], v[40:41], v[2:3]
	v_mov_b32_e32 v7, v8
	v_pk_add_f32 v[8:9], v[52:53], v[30:31]
	v_pk_add_f32 v[12:13], v[52:53], v[30:31] neg_lo:[0,1] neg_hi:[0,1]
	v_pk_add_f32 v[2:3], v[24:25], v[2:3]
	v_or_b32_e32 v56, 0x340, v18
	v_mov_b32_e32 v9, v12
	v_pk_add_f32 v[12:13], v[104:105], v[36:37]
	v_pk_add_f32 v[14:15], v[104:105], v[36:37] neg_lo:[0,1] neg_hi:[0,1]
	global_store_dwordx2 v[10:11], v[2:3], off
	v_lshl_add_u64 v[2:3], v[56:57], 3, v[16:17]
	v_mov_b32_e32 v13, v14
	v_pk_add_f32 v[14:15], v[100:101], v[62:63]
	v_pk_add_f32 v[16:17], v[100:101], v[62:63] neg_lo:[0,1] neg_hi:[0,1]
	v_mov_b32_e32 v18, v101
	v_mov_b32_e32 v15, v16
	;; [unrolled: 1-line block ×3, first 2 shown]
	v_pk_add_f32 v[28:29], v[50:51], v[58:59] op_sel:[0,1] neg_lo:[0,1] neg_hi:[0,1]
	v_pk_add_f32 v[54:55], v[50:51], v[58:59] op_sel_hi:[0,1]
	v_pk_add_f32 v[22:23], v[50:51], v[26:27] neg_lo:[0,1] neg_hi:[0,1]
	v_pk_add_f32 v[56:57], v[50:51], v[26:27]
	v_pk_add_f32 v[26:27], v[42:43], v[34:35] op_sel:[0,1] neg_lo:[0,1] neg_hi:[0,1]
	v_pk_add_f32 v[58:59], v[42:43], v[34:35] op_sel_hi:[0,1]
	v_pk_add_f32 v[34:35], v[16:17], v[32:33] op_sel:[0,1] neg_lo:[0,1] neg_hi:[0,1]
	v_pk_add_f32 v[62:63], v[18:19], v[32:33] op_sel_hi:[0,1]
	v_pk_add_f32 v[16:17], v[102:103], v[64:65]
	v_pk_add_f32 v[18:19], v[102:103], v[64:65] neg_lo:[0,1] neg_hi:[0,1]
	v_mov_b32_e32 v32, v103
	v_mov_b32_e32 v17, v18
	;; [unrolled: 1-line block ×4, first 2 shown]
	v_pk_add_f32 v[30:31], v[42:43], v[38:39] neg_lo:[0,1] neg_hi:[0,1]
	v_pk_add_f32 v[60:61], v[42:43], v[38:39]
	v_pk_add_f32 v[36:37], v[18:19], v[66:67] op_sel:[0,1] neg_lo:[0,1] neg_hi:[0,1]
	v_pk_add_f32 v[64:65], v[32:33], v[66:67] op_sel_hi:[0,1]
	v_pk_add_f32 v[18:19], v[72:73], v[68:69]
	v_pk_add_f32 v[32:33], v[72:73], v[68:69] neg_lo:[0,1] neg_hi:[0,1]
	v_pk_mul_f32 v[38:39], v[4:5], s[10:11]
	v_pk_mul_f32 v[40:41], v[6:7], s[8:9]
	v_mov_b32_e32 v56, v23
	v_mov_b32_e32 v19, v32
	v_pk_add_f32 v[32:33], v[74:75], v[70:71] neg_lo:[0,1] neg_hi:[0,1]
	v_pk_add_f32 v[66:67], v[74:75], v[70:71]
	v_pk_fma_f32 v[52:53], v[28:29], s[40:41], v[38:39] neg_lo:[1,0,0] neg_hi:[1,0,0]
	v_pk_fma_f32 v[68:69], v[54:55], s[40:41], v[38:39]
	v_pk_fma_f32 v[70:71], v[22:23], s[50:51], v[40:41] op_sel:[1,0,0] neg_lo:[1,0,0] neg_hi:[1,0,0]
	v_pk_fma_f32 v[22:23], v[54:55], s[40:41], v[38:39] neg_lo:[0,0,1] neg_hi:[0,0,1]
	v_mov_b32_e32 v58, v26
	v_pk_mul_f32 v[42:43], v[8:9], s[0:1]
	v_mov_b32_e32 v53, v69
	v_pk_fma_f32 v[72:73], v[56:57], s[50:51], v[40:41]
	v_mov_b32_e32 v69, v23
	v_pk_fma_f32 v[22:23], v[56:57], s[50:51], v[40:41] neg_lo:[0,0,1] neg_hi:[0,0,1]
	v_mov_b32_e32 v60, v31
	v_pk_mul_f32 v[44:45], v[12:13], s[20:21]
	v_mov_b32_e32 v71, v73
	v_pk_fma_f32 v[74:75], v[26:27], s[36:37], v[42:43] neg_lo:[1,0,0] neg_hi:[1,0,0]
	v_pk_fma_f32 v[76:77], v[58:59], s[36:37], v[42:43]
	v_mov_b32_e32 v73, v23
	v_pk_fma_f32 v[22:23], v[58:59], s[36:37], v[42:43] neg_lo:[0,0,1] neg_hi:[0,0,1]
	v_mov_b32_e32 v62, v34
	v_pk_mul_f32 v[46:47], v[14:15], s[2:3]
	v_mov_b32_e32 v75, v77
	v_pk_fma_f32 v[78:79], v[30:31], s[24:25], v[44:45] op_sel:[1,0,0] neg_lo:[1,0,0] neg_hi:[1,0,0]
	v_pk_fma_f32 v[80:81], v[60:61], s[24:25], v[44:45]
	v_mov_b32_e32 v77, v23
	v_pk_fma_f32 v[22:23], v[60:61], s[24:25], v[44:45] neg_lo:[0,0,1] neg_hi:[0,0,1]
	v_mov_b32_e32 v64, v36
	v_pk_mul_f32 v[48:49], v[16:17], s[6:7]
	v_mov_b32_e32 v79, v81
	v_pk_fma_f32 v[82:83], v[34:35], s[30:31], v[46:47] neg_lo:[1,0,0] neg_hi:[1,0,0]
	v_pk_fma_f32 v[84:85], v[62:63], s[30:31], v[46:47]
	v_mov_b32_e32 v81, v23
	v_pk_fma_f32 v[22:23], v[62:63], s[30:31], v[46:47] neg_lo:[0,0,1] neg_hi:[0,0,1]
	v_mov_b32_e32 v66, v33
	v_pk_mul_f32 v[50:51], v[18:19], s[4:5]
	v_mov_b32_e32 v83, v85
	v_pk_fma_f32 v[86:87], v[36:37], s[34:35], v[48:49] neg_lo:[1,0,0] neg_hi:[1,0,0]
	v_pk_fma_f32 v[88:89], v[64:65], s[34:35], v[48:49]
	v_mov_b32_e32 v85, v23
	v_pk_fma_f32 v[22:23], v[64:65], s[34:35], v[48:49] neg_lo:[0,0,1] neg_hi:[0,0,1]
	v_mov_b32_e32 v87, v89
	v_pk_fma_f32 v[90:91], v[32:33], s[38:39], v[50:51] op_sel:[1,0,0] neg_lo:[1,0,0] neg_hi:[1,0,0]
	v_pk_fma_f32 v[92:93], v[66:67], s[38:39], v[50:51]
	v_mov_b32_e32 v89, v23
	v_pk_fma_f32 v[22:23], v[66:67], s[38:39], v[50:51] neg_lo:[0,0,1] neg_hi:[0,0,1]
	v_pk_add_f32 v[102:103], v[20:21], v[24:25] neg_lo:[0,1] neg_hi:[0,1]
	v_mov_b32_e32 v91, v93
	v_mov_b32_e32 v93, v23
	v_pk_add_f32 v[100:101], v[20:21], v[24:25]
	v_pk_mul_f32 v[22:23], v[102:103], s[12:13] op_sel_hi:[1,0]
	v_pk_mul_f32 v[26:27], v[54:55], s[36:37]
	v_pk_fma_f32 v[20:21], v[100:101], s[10:11], v[22:23] op_sel:[0,0,1] op_sel_hi:[1,0,0]
	v_pk_fma_f32 v[22:23], v[100:101], s[10:11], v[22:23] op_sel:[0,0,1] op_sel_hi:[1,0,0] neg_lo:[0,0,1] neg_hi:[0,0,1]
	v_mov_b32_e32 v24, v20
	v_mov_b32_e32 v25, v23
	v_pk_add_f32 v[28:29], v[0:1], v[24:25]
	v_pk_fma_f32 v[24:25], v[4:5], s[0:1], v[26:27]
	v_pk_fma_f32 v[30:31], v[4:5], s[0:1], v[26:27] neg_lo:[1,0,0] neg_hi:[1,0,0]
	s_mov_b32 s13, 0x3f06c442
	v_mov_b32_e32 v30, v24
	v_pk_add_f32 v[32:33], v[28:29], v[30:31]
	v_pk_mul_f32 v[30:31], v[56:57], s[30:31]
	s_mov_b32 s56, s13
	v_pk_fma_f32 v[28:29], v[6:7], s[2:3], v[30:31]
	v_pk_fma_f32 v[34:35], v[6:7], s[2:3], v[30:31] neg_lo:[1,0,0] neg_hi:[1,0,0]
	s_mov_b32 s12, s6
	v_mov_b32_e32 v34, v28
	v_pk_add_f32 v[36:37], v[32:33], v[34:35]
	v_pk_mul_f32 v[34:35], v[58:59], s[38:39]
	v_mov_b32_e32 v98, v103
	v_pk_fma_f32 v[32:33], v[8:9], s[4:5], v[34:35]
	v_pk_fma_f32 v[38:39], v[8:9], s[4:5], v[34:35] neg_lo:[1,0,0] neg_hi:[1,0,0]
	v_mov_b32_e32 v99, v101
	v_mov_b32_e32 v38, v32
	v_pk_add_f32 v[40:41], v[36:37], v[38:39]
	v_pk_mul_f32 v[38:39], v[60:61], s[56:57]
	v_mov_b32_e32 v23, v21
	v_pk_fma_f32 v[36:37], v[12:13], s[12:13], v[38:39]
	v_pk_fma_f32 v[42:43], v[12:13], s[12:13], v[38:39] neg_lo:[1,0,0] neg_hi:[1,0,0]
	s_nop 0
	v_mov_b32_e32 v42, v36
	v_pk_add_f32 v[44:45], v[40:41], v[42:43]
	v_pk_mul_f32 v[42:43], v[62:63], s[54:55]
	s_nop 0
	v_pk_fma_f32 v[40:41], v[14:15], s[14:15], v[42:43]
	v_pk_fma_f32 v[46:47], v[14:15], s[14:15], v[42:43] neg_lo:[1,0,0] neg_hi:[1,0,0]
	s_nop 0
	v_mov_b32_e32 v46, v40
	v_pk_add_f32 v[48:49], v[44:45], v[46:47]
	v_pk_mul_f32 v[46:47], v[64:65], s[42:43]
	s_nop 0
	;; [unrolled: 7-line block ×3, first 2 shown]
	v_pk_fma_f32 v[48:49], v[18:19], s[18:19], v[50:51]
	v_pk_fma_f32 v[96:97], v[18:19], s[18:19], v[50:51] neg_lo:[1,0,0] neg_hi:[1,0,0]
	s_nop 0
	v_mov_b32_e32 v96, v48
	v_pk_add_f32 v[94:95], v[94:95], v[96:97]
	v_mov_b32_e32 v96, v100
	v_mov_b32_e32 v97, v102
	v_pk_mul_f32 v[96:97], v[96:97], s[22:23]
	s_nop 0
	v_pk_fma_f32 v[104:105], v[98:99], s[52:53], v[96:97] neg_lo:[1,0,0] neg_hi:[1,0,0]
	v_pk_fma_f32 v[106:107], v[98:99], s[52:53], v[96:97]
	s_nop 0
	v_mov_b32_e32 v105, v107
	v_pk_add_f32 v[104:105], v[0:1], v[104:105]
	s_nop 0
	v_pk_add_f32 v[52:53], v[104:105], v[52:53]
	s_nop 0
	v_pk_add_f32 v[52:53], v[52:53], v[70:71]
	v_pk_fma_f32 v[70:71], v[98:99], s[52:53], v[96:97] neg_lo:[0,0,1] neg_hi:[0,0,1]
	v_pk_add_f32 v[52:53], v[52:53], v[74:75]
	v_mov_b32_e32 v107, v71
	v_pk_add_f32 v[70:71], v[0:1], v[106:107]
	v_pk_add_f32 v[52:53], v[52:53], v[78:79]
	;; [unrolled: 1-line block ×7, first 2 shown]
	v_pk_mul_f32 v[72:73], v[56:57], s[28:29]
	v_pk_add_f32 v[68:69], v[68:69], v[80:81]
	v_pk_mul_f32 v[80:81], v[102:103], s[46:47] op_sel_hi:[1,0]
	v_pk_add_f32 v[68:69], v[68:69], v[84:85]
	v_pk_fma_f32 v[78:79], v[100:101], s[8:9], v[80:81] op_sel:[0,0,1] op_sel_hi:[1,0,0]
	v_pk_add_f32 v[68:69], v[68:69], v[88:89]
	v_pk_fma_f32 v[80:81], v[100:101], s[8:9], v[80:81] op_sel:[0,0,1] op_sel_hi:[1,0,0] neg_lo:[0,0,1] neg_hi:[0,0,1]
	v_pk_add_f32 v[68:69], v[68:69], v[92:93]
	global_store_dwordx2 v[10:11], v[68:69], off offset:416
	global_store_dwordx2 v[10:11], v[94:95], off offset:832
	v_pk_mul_f32 v[68:69], v[54:55], s[30:31]
	v_mov_b32_e32 v86, v78
	v_pk_fma_f32 v[74:75], v[4:5], s[2:3], v[68:69]
	v_pk_fma_f32 v[82:83], v[4:5], s[2:3], v[68:69] neg_lo:[1,0,0] neg_hi:[1,0,0]
	v_mov_b32_e32 v87, v81
	v_mov_b32_e32 v82, v74
	v_pk_fma_f32 v[76:77], v[6:7], s[26:27], v[72:73]
	v_pk_fma_f32 v[84:85], v[6:7], s[26:27], v[72:73] neg_lo:[1,0,0] neg_hi:[1,0,0]
	v_pk_add_f32 v[86:87], v[0:1], v[86:87]
	v_pk_mul_f32 v[70:71], v[58:59], s[54:55]
	v_mov_b32_e32 v84, v76
	v_pk_add_f32 v[86:87], v[86:87], v[82:83]
	s_mov_b32 s29, 0x3f2c7751
	v_pk_fma_f32 v[82:83], v[8:9], s[14:15], v[70:71]
	v_pk_add_f32 v[84:85], v[86:87], v[84:85]
	v_pk_fma_f32 v[86:87], v[8:9], s[14:15], v[70:71] neg_lo:[1,0,0] neg_hi:[1,0,0]
	s_mov_b32 s48, s29
	v_mov_b32_e32 v86, v82
	s_mov_b32 s28, s10
	v_pk_add_f32 v[88:89], v[84:85], v[86:87]
	v_pk_mul_f32 v[86:87], v[60:61], s[48:49]
	v_pk_add_f32 v[52:53], v[52:53], v[90:91]
	v_pk_fma_f32 v[84:85], v[12:13], s[28:29], v[86:87]
	v_pk_fma_f32 v[90:91], v[12:13], s[28:29], v[86:87] neg_lo:[1,0,0] neg_hi:[1,0,0]
	s_mov_b32 s46, s1
	v_mov_b32_e32 v90, v84
	v_pk_add_f32 v[92:93], v[88:89], v[90:91]
	v_pk_mul_f32 v[90:91], v[62:63], s[52:53]
	v_pk_mul_f32 v[110:111], v[102:103], s[46:47] op_sel_hi:[1,0]
	v_pk_fma_f32 v[88:89], v[14:15], s[22:23], v[90:91]
	v_pk_fma_f32 v[94:95], v[14:15], s[22:23], v[90:91] neg_lo:[1,0,0] neg_hi:[1,0,0]
	v_pk_fma_f32 v[108:109], v[100:101], s[0:1], v[110:111] op_sel:[0,0,1] op_sel_hi:[1,0,0]
	v_mov_b32_e32 v94, v88
	v_pk_add_f32 v[96:97], v[92:93], v[94:95]
	v_pk_mul_f32 v[94:95], v[64:65], s[36:37]
	v_pk_fma_f32 v[110:111], v[100:101], s[0:1], v[110:111] op_sel:[0,0,1] op_sel_hi:[1,0,0] neg_lo:[0,0,1] neg_hi:[0,0,1]
	v_pk_fma_f32 v[92:93], v[16:17], s[0:1], v[94:95]
	v_pk_fma_f32 v[98:99], v[16:17], s[0:1], v[94:95] neg_lo:[1,0,0] neg_hi:[1,0,0]
	v_mov_b32_e32 v114, v108
	v_mov_b32_e32 v98, v92
	v_pk_add_f32 v[104:105], v[96:97], v[98:99]
	v_pk_mul_f32 v[98:99], v[66:67], s[34:35]
	v_mov_b32_e32 v115, v111
	v_pk_fma_f32 v[96:97], v[18:19], s[6:7], v[98:99]
	v_pk_fma_f32 v[106:107], v[18:19], s[6:7], v[98:99] neg_lo:[1,0,0] neg_hi:[1,0,0]
	v_pk_add_f32 v[114:115], v[0:1], v[114:115]
	v_mov_b32_e32 v106, v96
	v_pk_add_f32 v[104:105], v[104:105], v[106:107]
	global_store_dwordx2 v[10:11], v[104:105], off offset:1248
	v_pk_mul_f32 v[104:105], v[54:55], s[38:39]
	s_mov_b32 s47, 0x3f4c4adb
	v_pk_fma_f32 v[106:107], v[4:5], s[4:5], v[104:105]
	v_pk_fma_f32 v[112:113], v[4:5], s[4:5], v[104:105] neg_lo:[1,0,0] neg_hi:[1,0,0]
	s_mov_b32 s58, s47
	v_mov_b32_e32 v112, v106
	v_pk_add_f32 v[116:117], v[114:115], v[112:113]
	v_pk_mul_f32 v[114:115], v[56:57], s[54:55]
	s_mov_b32 s46, s2
	v_pk_fma_f32 v[112:113], v[6:7], s[14:15], v[114:115]
	v_pk_fma_f32 v[118:119], v[6:7], s[14:15], v[114:115] neg_lo:[1,0,0] neg_hi:[1,0,0]
	v_mov_b32_e32 v111, v109
	v_mov_b32_e32 v118, v112
	v_pk_add_f32 v[120:121], v[116:117], v[118:119]
	v_pk_mul_f32 v[118:119], v[58:59], s[44:45]
	v_mov_b32_e32 v81, v79
	v_pk_fma_f32 v[116:117], v[8:9], s[18:19], v[118:119]
	v_pk_fma_f32 v[122:123], v[8:9], s[18:19], v[118:119] neg_lo:[1,0,0] neg_hi:[1,0,0]
	s_nop 0
	v_mov_b32_e32 v122, v116
	v_pk_add_f32 v[124:125], v[120:121], v[122:123]
	v_pk_mul_f32 v[122:123], v[60:61], s[50:51]
	s_nop 0
	v_pk_fma_f32 v[120:121], v[12:13], s[8:9], v[122:123]
	v_pk_fma_f32 v[126:127], v[12:13], s[8:9], v[122:123] neg_lo:[1,0,0] neg_hi:[1,0,0]
	s_nop 0
	v_mov_b32_e32 v126, v120
	v_pk_add_f32 v[128:129], v[124:125], v[126:127]
	v_pk_mul_f32 v[126:127], v[62:63], s[34:35]
	s_nop 0
	;; [unrolled: 7-line block ×4, first 2 shown]
	v_pk_fma_f32 v[132:133], v[18:19], s[28:29], v[134:135]
	v_pk_fma_f32 v[138:139], v[18:19], s[28:29], v[134:135] neg_lo:[1,0,0] neg_hi:[1,0,0]
	s_nop 0
	v_mov_b32_e32 v138, v132
	v_pk_add_f32 v[136:137], v[136:137], v[138:139]
	global_store_dwordx2 v[10:11], v[136:137], off offset:1664
	v_pk_mul_f32 v[136:137], v[54:55], s[56:57]
	s_mov_b32 s56, s21
	v_pk_mul_f32 v[142:143], v[102:103], s[56:57] op_sel_hi:[1,0]
	v_pk_fma_f32 v[138:139], v[4:5], s[12:13], v[136:137]
	v_pk_fma_f32 v[140:141], v[100:101], s[20:21], v[142:143] op_sel:[0,0,1] op_sel_hi:[1,0,0]
	v_pk_fma_f32 v[142:143], v[100:101], s[20:21], v[142:143] op_sel:[0,0,1] op_sel_hi:[1,0,0] neg_lo:[0,0,1] neg_hi:[0,0,1]
	v_pk_fma_f32 v[144:145], v[4:5], s[12:13], v[136:137] neg_lo:[1,0,0] neg_hi:[1,0,0]
	v_mov_b32_e32 v146, v140
	v_mov_b32_e32 v147, v143
	;; [unrolled: 1-line block ×3, first 2 shown]
	v_pk_add_f32 v[146:147], v[0:1], v[146:147]
	s_mov_b32 s57, s0
	v_pk_add_f32 v[148:149], v[146:147], v[144:145]
	v_pk_mul_f32 v[146:147], v[56:57], s[48:49]
	v_mov_b32_e32 v143, v141
	v_pk_fma_f32 v[144:145], v[6:7], s[28:29], v[146:147]
	v_pk_fma_f32 v[150:151], v[6:7], s[28:29], v[146:147] neg_lo:[1,0,0] neg_hi:[1,0,0]
	s_nop 0
	v_mov_b32_e32 v150, v144
	v_pk_add_f32 v[152:153], v[148:149], v[150:151]
	v_pk_mul_f32 v[150:151], v[58:59], s[50:51]
	s_mov_b32 s51, 0x3f7ee86f
	v_pk_fma_f32 v[148:149], v[8:9], s[8:9], v[150:151]
	v_pk_fma_f32 v[154:155], v[8:9], s[8:9], v[150:151] neg_lo:[1,0,0] neg_hi:[1,0,0]
	s_mov_b32 s56, s51
	v_mov_b32_e32 v154, v148
	v_pk_add_f32 v[156:157], v[152:153], v[154:155]
	v_pk_mul_f32 v[154:155], v[60:61], s[38:39]
	s_mov_b32 s50, s0
	v_pk_fma_f32 v[152:153], v[12:13], s[4:5], v[154:155]
	v_pk_fma_f32 v[158:159], v[12:13], s[4:5], v[154:155] neg_lo:[1,0,0] neg_hi:[1,0,0]
	s_nop 0
	v_mov_b32_e32 v158, v152
	v_pk_add_f32 v[160:161], v[156:157], v[158:159]
	v_pk_mul_f32 v[158:159], v[62:63], s[56:57]
	s_nop 0
	v_pk_fma_f32 v[156:157], v[14:15], s[50:51], v[158:159]
	v_pk_fma_f32 v[162:163], v[14:15], s[50:51], v[158:159] neg_lo:[1,0,0] neg_hi:[1,0,0]
	s_nop 0
	v_mov_b32_e32 v162, v156
	v_pk_add_f32 v[164:165], v[160:161], v[162:163]
	v_pk_mul_f32 v[162:163], v[64:65], s[52:53]
	s_nop 0
	;; [unrolled: 7-line block ×3, first 2 shown]
	v_pk_fma_f32 v[164:165], v[18:19], s[2:3], v[166:167]
	v_pk_fma_f32 v[170:171], v[18:19], s[2:3], v[166:167] neg_lo:[1,0,0] neg_hi:[1,0,0]
	s_nop 0
	v_mov_b32_e32 v170, v164
	v_pk_add_f32 v[168:169], v[168:169], v[170:171]
	v_pk_mul_f32 v[170:171], v[54:55], s[54:55]
	s_mov_b32 s54, s3
	v_pk_mul_f32 v[174:175], v[102:103], s[54:55] op_sel_hi:[1,0]
	global_store_dwordx2 v[10:11], v[168:169], off offset:2080
	v_pk_fma_f32 v[172:173], v[100:101], s[2:3], v[174:175] op_sel:[0,0,1] op_sel_hi:[1,0,0]
	v_pk_fma_f32 v[174:175], v[100:101], s[2:3], v[174:175] op_sel:[0,0,1] op_sel_hi:[1,0,0] neg_lo:[0,0,1] neg_hi:[0,0,1]
	v_pk_fma_f32 v[168:169], v[4:5], s[14:15], v[170:171]
	v_pk_fma_f32 v[176:177], v[4:5], s[14:15], v[170:171] neg_lo:[1,0,0] neg_hi:[1,0,0]
	v_mov_b32_e32 v178, v172
	v_mov_b32_e32 v179, v175
	;; [unrolled: 1-line block ×3, first 2 shown]
	v_pk_add_f32 v[178:179], v[0:1], v[178:179]
	v_mov_b32_e32 v175, v173
	v_pk_add_f32 v[180:181], v[178:179], v[176:177]
	v_pk_mul_f32 v[178:179], v[56:57], s[52:53]
	s_nop 0
	v_pk_fma_f32 v[176:177], v[6:7], s[22:23], v[178:179]
	v_pk_fma_f32 v[182:183], v[6:7], s[22:23], v[178:179] neg_lo:[1,0,0] neg_hi:[1,0,0]
	s_nop 0
	v_mov_b32_e32 v182, v176
	v_pk_add_f32 v[180:181], v[180:181], v[182:183]
	v_pk_mul_f32 v[182:183], v[58:59], s[34:35]
	s_nop 0
	v_pk_fma_f32 v[184:185], v[8:9], s[6:7], v[182:183]
	v_pk_fma_f32 v[186:187], v[8:9], s[6:7], v[182:183] neg_lo:[1,0,0] neg_hi:[1,0,0]
	s_nop 0
	;; [unrolled: 7-line block ×3, first 2 shown]
	v_mov_b32_e32 v190, v188
	v_pk_add_f32 v[180:181], v[180:181], v[190:191]
	v_pk_mul_f32 v[190:191], v[62:63], s[40:41]
	s_mov_b32 s40, s7
	v_pk_fma_f32 v[192:193], v[14:15], s[10:11], v[190:191]
	v_pk_fma_f32 v[194:195], v[14:15], s[10:11], v[190:191] neg_lo:[1,0,0] neg_hi:[1,0,0]
	v_pk_mul_f32 v[206:207], v[102:103], s[40:41] op_sel_hi:[1,0]
	v_mov_b32_e32 v194, v192
	v_pk_add_f32 v[180:181], v[180:181], v[194:195]
	v_pk_mul_f32 v[194:195], v[64:65], s[38:39]
	v_pk_fma_f32 v[208:209], v[100:101], s[6:7], v[206:207] op_sel:[0,0,1] op_sel_hi:[1,0,0]
	v_pk_fma_f32 v[196:197], v[16:17], s[4:5], v[194:195]
	v_pk_fma_f32 v[198:199], v[16:17], s[4:5], v[194:195] neg_lo:[1,0,0] neg_hi:[1,0,0]
	v_pk_fma_f32 v[206:207], v[100:101], s[6:7], v[206:207] op_sel:[0,0,1] op_sel_hi:[1,0,0] neg_lo:[0,0,1] neg_hi:[0,0,1]
	v_mov_b32_e32 v198, v196
	v_pk_add_f32 v[180:181], v[180:181], v[198:199]
	v_pk_mul_f32 v[198:199], v[66:67], s[42:43]
	v_mov_b32_e32 v210, v208
	v_pk_fma_f32 v[200:201], v[18:19], s[16:17], v[198:199]
	v_pk_fma_f32 v[202:203], v[18:19], s[16:17], v[198:199] neg_lo:[1,0,0] neg_hi:[1,0,0]
	v_mov_b32_e32 v211, v207
	v_mov_b32_e32 v202, v200
	v_pk_add_f32 v[180:181], v[180:181], v[202:203]
	global_store_dwordx2 v[10:11], v[180:181], off offset:2496
	v_pk_mul_f32 v[180:181], v[54:55], s[42:43]
	v_pk_add_f32 v[210:211], v[0:1], v[210:211]
	v_pk_fma_f32 v[202:203], v[4:5], s[16:17], v[180:181]
	v_pk_fma_f32 v[204:205], v[4:5], s[16:17], v[180:181] neg_lo:[1,0,0] neg_hi:[1,0,0]
	v_pk_mul_f32 v[54:55], v[54:55], s[44:45]
	v_mov_b32_e32 v204, v202
	v_pk_add_f32 v[204:205], v[210:211], v[204:205]
	v_pk_mul_f32 v[210:211], v[56:57], s[36:37]
	s_mov_b32 s36, s5
	v_pk_fma_f32 v[212:213], v[6:7], s[0:1], v[210:211]
	v_pk_fma_f32 v[214:215], v[6:7], s[0:1], v[210:211] neg_lo:[1,0,0] neg_hi:[1,0,0]
	v_pk_mul_f32 v[102:103], v[102:103], s[36:37] op_sel_hi:[1,0]
	v_mov_b32_e32 v214, v212
	v_pk_add_f32 v[204:205], v[204:205], v[214:215]
	v_pk_mul_f32 v[214:215], v[58:59], s[58:59]
	v_pk_mul_f32 v[56:57], v[56:57], s[34:35]
	v_pk_fma_f32 v[216:217], v[8:9], s[46:47], v[214:215]
	v_pk_fma_f32 v[218:219], v[8:9], s[46:47], v[214:215] neg_lo:[1,0,0] neg_hi:[1,0,0]
	v_pk_fma_f32 v[238:239], v[6:7], s[6:7], v[56:57] neg_lo:[1,0,0] neg_hi:[1,0,0]
	v_mov_b32_e32 v218, v216
	v_pk_add_f32 v[204:205], v[204:205], v[218:219]
	v_pk_mul_f32 v[218:219], v[60:61], s[52:53]
	v_pk_mul_f32 v[58:59], v[58:59], s[48:49]
	v_pk_fma_f32 v[220:221], v[12:13], s[22:23], v[218:219]
	v_pk_fma_f32 v[222:223], v[12:13], s[22:23], v[218:219] neg_lo:[1,0,0] neg_hi:[1,0,0]
	v_pk_fma_f32 v[240:241], v[8:9], s[28:29], v[58:59] neg_lo:[1,0,0] neg_hi:[1,0,0]
	;; [unrolled: 7-line block ×5, first 2 shown]
	v_mov_b32_e32 v234, v232
	v_pk_add_f32 v[204:205], v[204:205], v[234:235]
	global_store_dwordx2 v[10:11], v[204:205], off offset:2912
	v_pk_fma_f32 v[204:205], v[100:101], s[4:5], v[102:103] op_sel:[0,0,1] op_sel_hi:[1,0,0]
	v_pk_fma_f32 v[100:101], v[100:101], s[4:5], v[102:103] op_sel:[0,0,1] op_sel_hi:[1,0,0] neg_lo:[0,0,1] neg_hi:[0,0,1]
	v_pk_fma_f32 v[102:103], v[4:5], s[18:19], v[54:55]
	v_pk_fma_f32 v[234:235], v[4:5], s[18:19], v[54:55] neg_lo:[1,0,0] neg_hi:[1,0,0]
	v_mov_b32_e32 v236, v204
	v_mov_b32_e32 v237, v101
	v_mov_b32_e32 v234, v102
	v_pk_add_f32 v[236:237], v[0:1], v[236:237]
	v_pk_fma_f32 v[54:55], v[4:5], s[18:19], v[54:55] neg_lo:[0,0,1] neg_hi:[0,0,1]
	v_pk_add_f32 v[234:235], v[236:237], v[234:235]
	v_pk_fma_f32 v[236:237], v[6:7], s[6:7], v[56:57]
	v_mov_b32_e32 v101, v205
	v_mov_b32_e32 v238, v236
	v_pk_add_f32 v[234:235], v[234:235], v[238:239]
	v_pk_fma_f32 v[238:239], v[8:9], s[28:29], v[58:59]
	v_mov_b32_e32 v55, v103
	v_mov_b32_e32 v240, v238
	v_pk_add_f32 v[234:235], v[234:235], v[240:241]
	v_pk_fma_f32 v[240:241], v[12:13], s[2:3], v[60:61]
	v_pk_fma_f32 v[56:57], v[6:7], s[6:7], v[56:57] neg_lo:[0,0,1] neg_hi:[0,0,1]
	v_mov_b32_e32 v242, v240
	v_pk_add_f32 v[100:101], v[0:1], v[100:101]
	v_pk_add_f32 v[234:235], v[234:235], v[242:243]
	v_pk_fma_f32 v[242:243], v[14:15], s[16:17], v[62:63]
	v_mov_b32_e32 v57, v237
	v_pk_fma_f32 v[58:59], v[8:9], s[28:29], v[58:59] neg_lo:[0,0,1] neg_hi:[0,0,1]
	v_pk_add_f32 v[54:55], v[100:101], v[54:55]
	v_mov_b32_e32 v244, v242
	v_mov_b32_e32 v59, v239
	v_pk_fma_f32 v[60:61], v[12:13], s[2:3], v[60:61] neg_lo:[0,0,1] neg_hi:[0,0,1]
	v_pk_add_f32 v[54:55], v[54:55], v[56:57]
	v_pk_add_f32 v[234:235], v[234:235], v[244:245]
	v_pk_fma_f32 v[244:245], v[16:17], s[20:21], v[64:65]
	v_mov_b32_e32 v61, v241
	v_pk_fma_f32 v[62:63], v[14:15], s[16:17], v[62:63] neg_lo:[0,0,1] neg_hi:[0,0,1]
	v_pk_add_f32 v[54:55], v[54:55], v[58:59]
	v_mov_b32_e32 v246, v244
	v_pk_mul_f32 v[66:67], v[66:67], s[56:57]
	v_mov_b32_e32 v63, v243
	v_pk_fma_f32 v[64:65], v[16:17], s[20:21], v[64:65] neg_lo:[0,0,1] neg_hi:[0,0,1]
	v_pk_add_f32 v[54:55], v[54:55], v[60:61]
	v_pk_add_f32 v[234:235], v[234:235], v[246:247]
	v_pk_fma_f32 v[246:247], v[18:19], s[50:51], v[66:67]
	v_pk_fma_f32 v[248:249], v[18:19], s[50:51], v[66:67] neg_lo:[1,0,0] neg_hi:[1,0,0]
	v_mov_b32_e32 v65, v245
	v_pk_fma_f32 v[66:67], v[18:19], s[50:51], v[66:67] neg_lo:[0,0,1] neg_hi:[0,0,1]
	v_pk_add_f32 v[54:55], v[54:55], v[62:63]
	v_mov_b32_e32 v67, v247
	v_pk_add_f32 v[54:55], v[54:55], v[64:65]
	v_mov_b32_e32 v207, v209
	v_pk_add_f32 v[54:55], v[54:55], v[66:67]
	global_store_dwordx2 v[10:11], v[54:55], off offset:3744
	v_pk_fma_f32 v[54:55], v[4:5], s[16:17], v[180:181] neg_lo:[0,0,1] neg_hi:[0,0,1]
	v_pk_fma_f32 v[56:57], v[6:7], s[0:1], v[210:211] neg_lo:[0,0,1] neg_hi:[0,0,1]
	v_mov_b32_e32 v55, v203
	v_pk_add_f32 v[100:101], v[0:1], v[206:207]
	v_mov_b32_e32 v57, v213
	v_pk_fma_f32 v[58:59], v[8:9], s[46:47], v[214:215] neg_lo:[0,0,1] neg_hi:[0,0,1]
	v_pk_add_f32 v[54:55], v[100:101], v[54:55]
	v_mov_b32_e32 v59, v217
	v_pk_fma_f32 v[60:61], v[12:13], s[22:23], v[218:219] neg_lo:[0,0,1] neg_hi:[0,0,1]
	;; [unrolled: 3-line block ×3, first 2 shown]
	v_pk_add_f32 v[54:55], v[54:55], v[58:59]
	v_mov_b32_e32 v248, v246
	v_mov_b32_e32 v63, v225
	v_pk_fma_f32 v[64:65], v[16:17], s[28:29], v[226:227] neg_lo:[0,0,1] neg_hi:[0,0,1]
	v_pk_add_f32 v[54:55], v[54:55], v[60:61]
	v_pk_add_f32 v[234:235], v[234:235], v[248:249]
	v_mov_b32_e32 v65, v229
	v_pk_fma_f32 v[66:67], v[18:19], s[20:21], v[230:231] neg_lo:[0,0,1] neg_hi:[0,0,1]
	v_pk_add_f32 v[54:55], v[54:55], v[62:63]
	s_movk_i32 s20, 0x1000
	global_store_dwordx2 v[10:11], v[234:235], off offset:3328
	v_mov_b32_e32 v67, v233
	v_pk_add_f32 v[54:55], v[54:55], v[64:65]
	v_add_co_u32_e32 v10, vcc, s20, v10
	v_pk_add_f32 v[54:55], v[54:55], v[66:67]
	s_nop 0
	v_addc_co_u32_e32 v11, vcc, 0, v11, vcc
	global_store_dwordx2 v[10:11], v[54:55], off offset:64
	v_pk_fma_f32 v[54:55], v[4:5], s[14:15], v[170:171] neg_lo:[0,0,1] neg_hi:[0,0,1]
	v_pk_fma_f32 v[56:57], v[6:7], s[22:23], v[178:179] neg_lo:[0,0,1] neg_hi:[0,0,1]
	v_mov_b32_e32 v55, v169
	v_pk_add_f32 v[100:101], v[0:1], v[174:175]
	v_mov_b32_e32 v57, v177
	v_pk_fma_f32 v[58:59], v[8:9], s[6:7], v[182:183] neg_lo:[0,0,1] neg_hi:[0,0,1]
	v_pk_add_f32 v[54:55], v[100:101], v[54:55]
	v_mov_b32_e32 v59, v185
	v_pk_fma_f32 v[60:61], v[12:13], s[50:51], v[186:187] neg_lo:[0,0,1] neg_hi:[0,0,1]
	;; [unrolled: 3-line block ×5, first 2 shown]
	v_pk_add_f32 v[54:55], v[54:55], v[62:63]
	v_mov_b32_e32 v67, v201
	v_pk_add_f32 v[54:55], v[54:55], v[64:65]
	v_pk_fma_f32 v[56:57], v[6:7], s[28:29], v[146:147] neg_lo:[0,0,1] neg_hi:[0,0,1]
	v_pk_add_f32 v[54:55], v[54:55], v[66:67]
	global_store_dwordx2 v[10:11], v[54:55], off offset:480
	v_pk_fma_f32 v[54:55], v[4:5], s[12:13], v[136:137] neg_lo:[0,0,1] neg_hi:[0,0,1]
	v_pk_add_f32 v[100:101], v[0:1], v[142:143]
	v_mov_b32_e32 v55, v139
	v_mov_b32_e32 v57, v145
	v_pk_fma_f32 v[58:59], v[8:9], s[8:9], v[150:151] neg_lo:[0,0,1] neg_hi:[0,0,1]
	v_pk_add_f32 v[54:55], v[100:101], v[54:55]
	v_mov_b32_e32 v59, v149
	v_pk_fma_f32 v[60:61], v[12:13], s[4:5], v[154:155] neg_lo:[0,0,1] neg_hi:[0,0,1]
	v_pk_add_f32 v[54:55], v[54:55], v[56:57]
	;; [unrolled: 3-line block ×5, first 2 shown]
	v_mov_b32_e32 v67, v165
	v_pk_add_f32 v[54:55], v[54:55], v[64:65]
	v_pk_fma_f32 v[56:57], v[6:7], s[14:15], v[114:115] neg_lo:[0,0,1] neg_hi:[0,0,1]
	v_pk_add_f32 v[54:55], v[54:55], v[66:67]
	global_store_dwordx2 v[10:11], v[54:55], off offset:896
	v_pk_fma_f32 v[54:55], v[4:5], s[4:5], v[104:105] neg_lo:[0,0,1] neg_hi:[0,0,1]
	v_pk_add_f32 v[100:101], v[0:1], v[110:111]
	v_mov_b32_e32 v55, v107
	v_mov_b32_e32 v57, v113
	v_pk_fma_f32 v[58:59], v[8:9], s[18:19], v[118:119] neg_lo:[0,0,1] neg_hi:[0,0,1]
	v_pk_add_f32 v[54:55], v[100:101], v[54:55]
	v_mov_b32_e32 v59, v117
	v_pk_fma_f32 v[60:61], v[12:13], s[8:9], v[122:123] neg_lo:[0,0,1] neg_hi:[0,0,1]
	v_pk_add_f32 v[54:55], v[54:55], v[56:57]
	;; [unrolled: 3-line block ×5, first 2 shown]
	v_mov_b32_e32 v67, v133
	v_pk_add_f32 v[54:55], v[54:55], v[64:65]
	v_pk_fma_f32 v[56:57], v[6:7], s[26:27], v[72:73] neg_lo:[0,0,1] neg_hi:[0,0,1]
	v_pk_add_f32 v[54:55], v[54:55], v[66:67]
	global_store_dwordx2 v[10:11], v[54:55], off offset:1312
	v_pk_fma_f32 v[54:55], v[4:5], s[2:3], v[68:69] neg_lo:[0,0,1] neg_hi:[0,0,1]
	v_pk_fma_f32 v[4:5], v[4:5], s[0:1], v[26:27] neg_lo:[0,0,1] neg_hi:[0,0,1]
	v_pk_add_f32 v[68:69], v[0:1], v[80:81]
	v_pk_add_f32 v[0:1], v[0:1], v[22:23]
	v_mov_b32_e32 v5, v25
	v_pk_add_f32 v[0:1], v[0:1], v[4:5]
	v_pk_fma_f32 v[4:5], v[6:7], s[2:3], v[30:31] neg_lo:[0,0,1] neg_hi:[0,0,1]
	v_mov_b32_e32 v55, v75
	v_mov_b32_e32 v5, v29
	v_pk_add_f32 v[0:1], v[0:1], v[4:5]
	v_pk_fma_f32 v[4:5], v[8:9], s[4:5], v[34:35] neg_lo:[0,0,1] neg_hi:[0,0,1]
	v_mov_b32_e32 v57, v77
	v_mov_b32_e32 v5, v33
	v_pk_add_f32 v[0:1], v[0:1], v[4:5]
	v_pk_fma_f32 v[4:5], v[12:13], s[12:13], v[38:39] neg_lo:[0,0,1] neg_hi:[0,0,1]
	v_pk_fma_f32 v[58:59], v[8:9], s[14:15], v[70:71] neg_lo:[0,0,1] neg_hi:[0,0,1]
	v_mov_b32_e32 v5, v37
	v_pk_add_f32 v[54:55], v[68:69], v[54:55]
	v_pk_add_f32 v[0:1], v[0:1], v[4:5]
	v_pk_fma_f32 v[4:5], v[14:15], s[14:15], v[42:43] neg_lo:[0,0,1] neg_hi:[0,0,1]
	v_mov_b32_e32 v59, v83
	v_pk_fma_f32 v[60:61], v[12:13], s[28:29], v[86:87] neg_lo:[0,0,1] neg_hi:[0,0,1]
	v_pk_add_f32 v[54:55], v[54:55], v[56:57]
	v_mov_b32_e32 v5, v41
	v_mov_b32_e32 v61, v85
	v_pk_fma_f32 v[62:63], v[14:15], s[22:23], v[90:91] neg_lo:[0,0,1] neg_hi:[0,0,1]
	v_pk_add_f32 v[54:55], v[54:55], v[58:59]
	v_pk_add_f32 v[0:1], v[0:1], v[4:5]
	v_pk_fma_f32 v[4:5], v[16:17], s[16:17], v[46:47] neg_lo:[0,0,1] neg_hi:[0,0,1]
	v_mov_b32_e32 v63, v89
	v_pk_fma_f32 v[64:65], v[16:17], s[0:1], v[94:95] neg_lo:[0,0,1] neg_hi:[0,0,1]
	v_pk_add_f32 v[54:55], v[54:55], v[60:61]
	v_mov_b32_e32 v5, v45
	v_mov_b32_e32 v65, v93
	v_pk_fma_f32 v[66:67], v[18:19], s[6:7], v[98:99] neg_lo:[0,0,1] neg_hi:[0,0,1]
	v_pk_add_f32 v[54:55], v[54:55], v[62:63]
	v_pk_add_f32 v[0:1], v[0:1], v[4:5]
	v_pk_fma_f32 v[4:5], v[18:19], s[18:19], v[50:51] neg_lo:[0,0,1] neg_hi:[0,0,1]
	v_mov_b32_e32 v67, v97
	v_pk_add_f32 v[54:55], v[54:55], v[64:65]
	v_mov_b32_e32 v5, v49
	v_pk_add_f32 v[54:55], v[54:55], v[66:67]
	v_pk_add_f32 v[0:1], v[0:1], v[4:5]
	global_store_dwordx2 v[10:11], v[54:55], off offset:1728
	global_store_dwordx2 v[10:11], v[0:1], off offset:2144
	global_store_dwordx2 v[2:3], v[52:53], off
.LBB0_32:
	s_endpgm
	.section	.rodata,"a",@progbits
	.p2align	6, 0x0
	.amdhsa_kernel fft_rtc_back_len884_factors_13_4_17_wgs_204_tpt_68_halfLds_sp_op_CI_CI_unitstride_sbrr_dirReg
		.amdhsa_group_segment_fixed_size 0
		.amdhsa_private_segment_fixed_size 0
		.amdhsa_kernarg_size 104
		.amdhsa_user_sgpr_count 2
		.amdhsa_user_sgpr_dispatch_ptr 0
		.amdhsa_user_sgpr_queue_ptr 0
		.amdhsa_user_sgpr_kernarg_segment_ptr 1
		.amdhsa_user_sgpr_dispatch_id 0
		.amdhsa_user_sgpr_kernarg_preload_length 0
		.amdhsa_user_sgpr_kernarg_preload_offset 0
		.amdhsa_user_sgpr_private_segment_size 0
		.amdhsa_uses_dynamic_stack 0
		.amdhsa_enable_private_segment 0
		.amdhsa_system_sgpr_workgroup_id_x 1
		.amdhsa_system_sgpr_workgroup_id_y 0
		.amdhsa_system_sgpr_workgroup_id_z 0
		.amdhsa_system_sgpr_workgroup_info 0
		.amdhsa_system_vgpr_workitem_id 0
		.amdhsa_next_free_vgpr 250
		.amdhsa_next_free_sgpr 62
		.amdhsa_accum_offset 252
		.amdhsa_reserve_vcc 1
		.amdhsa_float_round_mode_32 0
		.amdhsa_float_round_mode_16_64 0
		.amdhsa_float_denorm_mode_32 3
		.amdhsa_float_denorm_mode_16_64 3
		.amdhsa_dx10_clamp 1
		.amdhsa_ieee_mode 1
		.amdhsa_fp16_overflow 0
		.amdhsa_tg_split 0
		.amdhsa_exception_fp_ieee_invalid_op 0
		.amdhsa_exception_fp_denorm_src 0
		.amdhsa_exception_fp_ieee_div_zero 0
		.amdhsa_exception_fp_ieee_overflow 0
		.amdhsa_exception_fp_ieee_underflow 0
		.amdhsa_exception_fp_ieee_inexact 0
		.amdhsa_exception_int_div_zero 0
	.end_amdhsa_kernel
	.text
.Lfunc_end0:
	.size	fft_rtc_back_len884_factors_13_4_17_wgs_204_tpt_68_halfLds_sp_op_CI_CI_unitstride_sbrr_dirReg, .Lfunc_end0-fft_rtc_back_len884_factors_13_4_17_wgs_204_tpt_68_halfLds_sp_op_CI_CI_unitstride_sbrr_dirReg
                                        ; -- End function
	.section	.AMDGPU.csdata,"",@progbits
; Kernel info:
; codeLenInByte = 11772
; NumSgprs: 68
; NumVgprs: 250
; NumAgprs: 0
; TotalNumVgprs: 250
; ScratchSize: 0
; MemoryBound: 0
; FloatMode: 240
; IeeeMode: 1
; LDSByteSize: 0 bytes/workgroup (compile time only)
; SGPRBlocks: 8
; VGPRBlocks: 31
; NumSGPRsForWavesPerEU: 68
; NumVGPRsForWavesPerEU: 250
; AccumOffset: 252
; Occupancy: 2
; WaveLimiterHint : 1
; COMPUTE_PGM_RSRC2:SCRATCH_EN: 0
; COMPUTE_PGM_RSRC2:USER_SGPR: 2
; COMPUTE_PGM_RSRC2:TRAP_HANDLER: 0
; COMPUTE_PGM_RSRC2:TGID_X_EN: 1
; COMPUTE_PGM_RSRC2:TGID_Y_EN: 0
; COMPUTE_PGM_RSRC2:TGID_Z_EN: 0
; COMPUTE_PGM_RSRC2:TIDIG_COMP_CNT: 0
; COMPUTE_PGM_RSRC3_GFX90A:ACCUM_OFFSET: 62
; COMPUTE_PGM_RSRC3_GFX90A:TG_SPLIT: 0
	.text
	.p2alignl 6, 3212836864
	.fill 256, 4, 3212836864
	.type	__hip_cuid_d516b61cdc9ed09e,@object ; @__hip_cuid_d516b61cdc9ed09e
	.section	.bss,"aw",@nobits
	.globl	__hip_cuid_d516b61cdc9ed09e
__hip_cuid_d516b61cdc9ed09e:
	.byte	0                               ; 0x0
	.size	__hip_cuid_d516b61cdc9ed09e, 1

	.ident	"AMD clang version 19.0.0git (https://github.com/RadeonOpenCompute/llvm-project roc-6.4.0 25133 c7fe45cf4b819c5991fe208aaa96edf142730f1d)"
	.section	".note.GNU-stack","",@progbits
	.addrsig
	.addrsig_sym __hip_cuid_d516b61cdc9ed09e
	.amdgpu_metadata
---
amdhsa.kernels:
  - .agpr_count:     0
    .args:
      - .actual_access:  read_only
        .address_space:  global
        .offset:         0
        .size:           8
        .value_kind:     global_buffer
      - .offset:         8
        .size:           8
        .value_kind:     by_value
      - .actual_access:  read_only
        .address_space:  global
        .offset:         16
        .size:           8
        .value_kind:     global_buffer
      - .actual_access:  read_only
        .address_space:  global
        .offset:         24
        .size:           8
        .value_kind:     global_buffer
      - .actual_access:  read_only
        .address_space:  global
        .offset:         32
        .size:           8
        .value_kind:     global_buffer
      - .offset:         40
        .size:           8
        .value_kind:     by_value
      - .actual_access:  read_only
        .address_space:  global
        .offset:         48
        .size:           8
        .value_kind:     global_buffer
      - .actual_access:  read_only
        .address_space:  global
        .offset:         56
        .size:           8
        .value_kind:     global_buffer
      - .offset:         64
        .size:           4
        .value_kind:     by_value
      - .actual_access:  read_only
        .address_space:  global
        .offset:         72
        .size:           8
        .value_kind:     global_buffer
      - .actual_access:  read_only
        .address_space:  global
        .offset:         80
        .size:           8
        .value_kind:     global_buffer
      - .actual_access:  read_only
        .address_space:  global
        .offset:         88
        .size:           8
        .value_kind:     global_buffer
      - .actual_access:  write_only
        .address_space:  global
        .offset:         96
        .size:           8
        .value_kind:     global_buffer
    .group_segment_fixed_size: 0
    .kernarg_segment_align: 8
    .kernarg_segment_size: 104
    .language:       OpenCL C
    .language_version:
      - 2
      - 0
    .max_flat_workgroup_size: 204
    .name:           fft_rtc_back_len884_factors_13_4_17_wgs_204_tpt_68_halfLds_sp_op_CI_CI_unitstride_sbrr_dirReg
    .private_segment_fixed_size: 0
    .sgpr_count:     68
    .sgpr_spill_count: 0
    .symbol:         fft_rtc_back_len884_factors_13_4_17_wgs_204_tpt_68_halfLds_sp_op_CI_CI_unitstride_sbrr_dirReg.kd
    .uniform_work_group_size: 1
    .uses_dynamic_stack: false
    .vgpr_count:     250
    .vgpr_spill_count: 0
    .wavefront_size: 64
amdhsa.target:   amdgcn-amd-amdhsa--gfx950
amdhsa.version:
  - 1
  - 2
...

	.end_amdgpu_metadata
